;; amdgpu-corpus repo=ROCm/rocFFT kind=compiled arch=gfx1201 opt=O3
	.text
	.amdgcn_target "amdgcn-amd-amdhsa--gfx1201"
	.amdhsa_code_object_version 6
	.protected	fft_rtc_fwd_len546_factors_13_3_7_2_wgs_117_tpt_39_halfLds_dp_op_CI_CI_unitstride_sbrr_R2C_dirReg ; -- Begin function fft_rtc_fwd_len546_factors_13_3_7_2_wgs_117_tpt_39_halfLds_dp_op_CI_CI_unitstride_sbrr_R2C_dirReg
	.globl	fft_rtc_fwd_len546_factors_13_3_7_2_wgs_117_tpt_39_halfLds_dp_op_CI_CI_unitstride_sbrr_R2C_dirReg
	.p2align	8
	.type	fft_rtc_fwd_len546_factors_13_3_7_2_wgs_117_tpt_39_halfLds_dp_op_CI_CI_unitstride_sbrr_R2C_dirReg,@function
fft_rtc_fwd_len546_factors_13_3_7_2_wgs_117_tpt_39_halfLds_dp_op_CI_CI_unitstride_sbrr_R2C_dirReg: ; @fft_rtc_fwd_len546_factors_13_3_7_2_wgs_117_tpt_39_halfLds_dp_op_CI_CI_unitstride_sbrr_R2C_dirReg
; %bb.0:
	s_load_b128 s[8:11], s[0:1], 0x0
	v_mul_u32_u24_e32 v1, 0x691, v0
	s_clause 0x1
	s_load_b128 s[4:7], s[0:1], 0x58
	s_load_b128 s[12:15], s[0:1], 0x18
	v_mov_b32_e32 v5, 0
	v_lshrrev_b32_e32 v3, 16, v1
	v_mov_b32_e32 v1, 0
	v_mov_b32_e32 v2, 0
	s_delay_alu instid0(VALU_DEP_3) | instskip(NEXT) | instid1(VALU_DEP_2)
	v_mad_co_u64_u32 v[3:4], null, ttmp9, 3, v[3:4]
	v_dual_mov_b32 v4, v5 :: v_dual_mov_b32 v61, v2
	s_delay_alu instid0(VALU_DEP_1) | instskip(NEXT) | instid1(VALU_DEP_3)
	v_dual_mov_b32 v60, v1 :: v_dual_mov_b32 v65, v4
	v_mov_b32_e32 v64, v3
	s_wait_kmcnt 0x0
	v_cmp_lt_u64_e64 s2, s[10:11], 2
	s_delay_alu instid0(VALU_DEP_1)
	s_and_b32 vcc_lo, exec_lo, s2
	s_cbranch_vccnz .LBB0_8
; %bb.1:
	s_load_b64 s[2:3], s[0:1], 0x10
	v_dual_mov_b32 v1, 0 :: v_dual_mov_b32 v8, v4
	v_dual_mov_b32 v2, 0 :: v_dual_mov_b32 v7, v3
	s_add_nc_u64 s[16:17], s[14:15], 8
	s_add_nc_u64 s[18:19], s[12:13], 8
	s_mov_b64 s[20:21], 1
	s_delay_alu instid0(VALU_DEP_1)
	v_dual_mov_b32 v61, v2 :: v_dual_mov_b32 v60, v1
	s_wait_kmcnt 0x0
	s_add_nc_u64 s[22:23], s[2:3], 8
	s_mov_b32 s3, 0
.LBB0_2:                                ; =>This Inner Loop Header: Depth=1
	s_load_b64 s[24:25], s[22:23], 0x0
                                        ; implicit-def: $vgpr64_vgpr65
	s_mov_b32 s2, exec_lo
	s_wait_kmcnt 0x0
	v_or_b32_e32 v6, s25, v8
	s_delay_alu instid0(VALU_DEP_1)
	v_cmpx_ne_u64_e32 0, v[5:6]
	s_wait_alu 0xfffe
	s_xor_b32 s26, exec_lo, s2
	s_cbranch_execz .LBB0_4
; %bb.3:                                ;   in Loop: Header=BB0_2 Depth=1
	s_cvt_f32_u32 s2, s24
	s_cvt_f32_u32 s27, s25
	s_sub_nc_u64 s[30:31], 0, s[24:25]
	s_wait_alu 0xfffe
	s_delay_alu instid0(SALU_CYCLE_1) | instskip(SKIP_1) | instid1(SALU_CYCLE_2)
	s_fmamk_f32 s2, s27, 0x4f800000, s2
	s_wait_alu 0xfffe
	v_s_rcp_f32 s2, s2
	s_delay_alu instid0(TRANS32_DEP_1) | instskip(SKIP_1) | instid1(SALU_CYCLE_2)
	s_mul_f32 s2, s2, 0x5f7ffffc
	s_wait_alu 0xfffe
	s_mul_f32 s27, s2, 0x2f800000
	s_wait_alu 0xfffe
	s_delay_alu instid0(SALU_CYCLE_2) | instskip(SKIP_1) | instid1(SALU_CYCLE_2)
	s_trunc_f32 s27, s27
	s_wait_alu 0xfffe
	s_fmamk_f32 s2, s27, 0xcf800000, s2
	s_cvt_u32_f32 s29, s27
	s_wait_alu 0xfffe
	s_delay_alu instid0(SALU_CYCLE_1) | instskip(SKIP_1) | instid1(SALU_CYCLE_2)
	s_cvt_u32_f32 s28, s2
	s_wait_alu 0xfffe
	s_mul_u64 s[34:35], s[30:31], s[28:29]
	s_wait_alu 0xfffe
	s_mul_hi_u32 s37, s28, s35
	s_mul_i32 s36, s28, s35
	s_mul_hi_u32 s2, s28, s34
	s_mul_i32 s33, s29, s34
	s_wait_alu 0xfffe
	s_add_nc_u64 s[36:37], s[2:3], s[36:37]
	s_mul_hi_u32 s27, s29, s34
	s_mul_hi_u32 s38, s29, s35
	s_add_co_u32 s2, s36, s33
	s_wait_alu 0xfffe
	s_add_co_ci_u32 s2, s37, s27
	s_mul_i32 s34, s29, s35
	s_add_co_ci_u32 s35, s38, 0
	s_wait_alu 0xfffe
	s_add_nc_u64 s[34:35], s[2:3], s[34:35]
	s_wait_alu 0xfffe
	v_add_co_u32 v4, s2, s28, s34
	s_delay_alu instid0(VALU_DEP_1) | instskip(SKIP_1) | instid1(VALU_DEP_1)
	s_cmp_lg_u32 s2, 0
	s_add_co_ci_u32 s29, s29, s35
	v_readfirstlane_b32 s28, v4
	s_wait_alu 0xfffe
	s_delay_alu instid0(VALU_DEP_1)
	s_mul_u64 s[30:31], s[30:31], s[28:29]
	s_wait_alu 0xfffe
	s_mul_hi_u32 s35, s28, s31
	s_mul_i32 s34, s28, s31
	s_mul_hi_u32 s2, s28, s30
	s_mul_i32 s33, s29, s30
	s_wait_alu 0xfffe
	s_add_nc_u64 s[34:35], s[2:3], s[34:35]
	s_mul_hi_u32 s27, s29, s30
	s_mul_hi_u32 s28, s29, s31
	s_wait_alu 0xfffe
	s_add_co_u32 s2, s34, s33
	s_add_co_ci_u32 s2, s35, s27
	s_mul_i32 s30, s29, s31
	s_add_co_ci_u32 s31, s28, 0
	s_wait_alu 0xfffe
	s_add_nc_u64 s[30:31], s[2:3], s[30:31]
	s_wait_alu 0xfffe
	v_add_co_u32 v4, s2, v4, s30
	s_delay_alu instid0(VALU_DEP_1) | instskip(SKIP_1) | instid1(VALU_DEP_1)
	s_cmp_lg_u32 s2, 0
	s_add_co_ci_u32 s2, s29, s31
	v_mul_hi_u32 v6, v7, v4
	s_wait_alu 0xfffe
	v_mad_co_u64_u32 v[9:10], null, v7, s2, 0
	v_mad_co_u64_u32 v[11:12], null, v8, v4, 0
	;; [unrolled: 1-line block ×3, first 2 shown]
	s_delay_alu instid0(VALU_DEP_3) | instskip(SKIP_1) | instid1(VALU_DEP_4)
	v_add_co_u32 v4, vcc_lo, v6, v9
	s_wait_alu 0xfffd
	v_add_co_ci_u32_e32 v6, vcc_lo, 0, v10, vcc_lo
	s_delay_alu instid0(VALU_DEP_2) | instskip(SKIP_1) | instid1(VALU_DEP_2)
	v_add_co_u32 v4, vcc_lo, v4, v11
	s_wait_alu 0xfffd
	v_add_co_ci_u32_e32 v4, vcc_lo, v6, v12, vcc_lo
	s_wait_alu 0xfffd
	v_add_co_ci_u32_e32 v6, vcc_lo, 0, v14, vcc_lo
	s_delay_alu instid0(VALU_DEP_2) | instskip(SKIP_1) | instid1(VALU_DEP_2)
	v_add_co_u32 v4, vcc_lo, v4, v13
	s_wait_alu 0xfffd
	v_add_co_ci_u32_e32 v6, vcc_lo, 0, v6, vcc_lo
	s_delay_alu instid0(VALU_DEP_2) | instskip(SKIP_1) | instid1(VALU_DEP_3)
	v_mul_lo_u32 v11, s25, v4
	v_mad_co_u64_u32 v[9:10], null, s24, v4, 0
	v_mul_lo_u32 v12, s24, v6
	s_delay_alu instid0(VALU_DEP_2) | instskip(NEXT) | instid1(VALU_DEP_2)
	v_sub_co_u32 v9, vcc_lo, v7, v9
	v_add3_u32 v10, v10, v12, v11
	s_delay_alu instid0(VALU_DEP_1) | instskip(SKIP_1) | instid1(VALU_DEP_1)
	v_sub_nc_u32_e32 v11, v8, v10
	s_wait_alu 0xfffd
	v_subrev_co_ci_u32_e64 v11, s2, s25, v11, vcc_lo
	v_add_co_u32 v12, s2, v4, 2
	s_wait_alu 0xf1ff
	v_add_co_ci_u32_e64 v13, s2, 0, v6, s2
	v_sub_co_u32 v14, s2, v9, s24
	v_sub_co_ci_u32_e32 v10, vcc_lo, v8, v10, vcc_lo
	s_wait_alu 0xf1ff
	v_subrev_co_ci_u32_e64 v11, s2, 0, v11, s2
	s_delay_alu instid0(VALU_DEP_3) | instskip(NEXT) | instid1(VALU_DEP_3)
	v_cmp_le_u32_e32 vcc_lo, s24, v14
	v_cmp_eq_u32_e64 s2, s25, v10
	s_wait_alu 0xfffd
	v_cndmask_b32_e64 v14, 0, -1, vcc_lo
	v_cmp_le_u32_e32 vcc_lo, s25, v11
	s_wait_alu 0xfffd
	v_cndmask_b32_e64 v15, 0, -1, vcc_lo
	v_cmp_le_u32_e32 vcc_lo, s24, v9
	;; [unrolled: 3-line block ×3, first 2 shown]
	s_wait_alu 0xfffd
	v_cndmask_b32_e64 v16, 0, -1, vcc_lo
	v_cmp_eq_u32_e32 vcc_lo, s25, v11
	s_wait_alu 0xf1ff
	s_delay_alu instid0(VALU_DEP_2)
	v_cndmask_b32_e64 v9, v16, v9, s2
	s_wait_alu 0xfffd
	v_cndmask_b32_e32 v11, v15, v14, vcc_lo
	v_add_co_u32 v14, vcc_lo, v4, 1
	s_wait_alu 0xfffd
	v_add_co_ci_u32_e32 v15, vcc_lo, 0, v6, vcc_lo
	s_delay_alu instid0(VALU_DEP_3) | instskip(SKIP_1) | instid1(VALU_DEP_2)
	v_cmp_ne_u32_e32 vcc_lo, 0, v11
	s_wait_alu 0xfffd
	v_dual_cndmask_b32 v10, v15, v13 :: v_dual_cndmask_b32 v11, v14, v12
	v_cmp_ne_u32_e32 vcc_lo, 0, v9
	s_wait_alu 0xfffd
	s_delay_alu instid0(VALU_DEP_2)
	v_dual_cndmask_b32 v65, v6, v10 :: v_dual_cndmask_b32 v64, v4, v11
.LBB0_4:                                ;   in Loop: Header=BB0_2 Depth=1
	s_wait_alu 0xfffe
	s_and_not1_saveexec_b32 s2, s26
	s_cbranch_execz .LBB0_6
; %bb.5:                                ;   in Loop: Header=BB0_2 Depth=1
	v_cvt_f32_u32_e32 v4, s24
	s_sub_co_i32 s26, 0, s24
	v_mov_b32_e32 v65, v5
	s_delay_alu instid0(VALU_DEP_2) | instskip(NEXT) | instid1(TRANS32_DEP_1)
	v_rcp_iflag_f32_e32 v4, v4
	v_mul_f32_e32 v4, 0x4f7ffffe, v4
	s_delay_alu instid0(VALU_DEP_1) | instskip(SKIP_1) | instid1(VALU_DEP_1)
	v_cvt_u32_f32_e32 v4, v4
	s_wait_alu 0xfffe
	v_mul_lo_u32 v6, s26, v4
	s_delay_alu instid0(VALU_DEP_1) | instskip(NEXT) | instid1(VALU_DEP_1)
	v_mul_hi_u32 v6, v4, v6
	v_add_nc_u32_e32 v4, v4, v6
	s_delay_alu instid0(VALU_DEP_1) | instskip(NEXT) | instid1(VALU_DEP_1)
	v_mul_hi_u32 v4, v7, v4
	v_mul_lo_u32 v6, v4, s24
	s_delay_alu instid0(VALU_DEP_1) | instskip(NEXT) | instid1(VALU_DEP_1)
	v_sub_nc_u32_e32 v6, v7, v6
	v_subrev_nc_u32_e32 v10, s24, v6
	v_cmp_le_u32_e32 vcc_lo, s24, v6
	s_wait_alu 0xfffd
	s_delay_alu instid0(VALU_DEP_2) | instskip(NEXT) | instid1(VALU_DEP_1)
	v_dual_cndmask_b32 v6, v6, v10 :: v_dual_add_nc_u32 v9, 1, v4
	v_cndmask_b32_e32 v4, v4, v9, vcc_lo
	s_delay_alu instid0(VALU_DEP_2) | instskip(NEXT) | instid1(VALU_DEP_2)
	v_cmp_le_u32_e32 vcc_lo, s24, v6
	v_add_nc_u32_e32 v9, 1, v4
	s_wait_alu 0xfffd
	s_delay_alu instid0(VALU_DEP_1)
	v_cndmask_b32_e32 v64, v4, v9, vcc_lo
.LBB0_6:                                ;   in Loop: Header=BB0_2 Depth=1
	s_wait_alu 0xfffe
	s_or_b32 exec_lo, exec_lo, s2
	v_mul_lo_u32 v4, v65, s24
	s_delay_alu instid0(VALU_DEP_2)
	v_mul_lo_u32 v6, v64, s25
	s_load_b64 s[26:27], s[18:19], 0x0
	v_mad_co_u64_u32 v[9:10], null, v64, s24, 0
	s_load_b64 s[24:25], s[16:17], 0x0
	s_add_nc_u64 s[20:21], s[20:21], 1
	s_add_nc_u64 s[16:17], s[16:17], 8
	s_wait_alu 0xfffe
	v_cmp_ge_u64_e64 s2, s[20:21], s[10:11]
	s_add_nc_u64 s[18:19], s[18:19], 8
	s_add_nc_u64 s[22:23], s[22:23], 8
	v_add3_u32 v4, v10, v6, v4
	v_sub_co_u32 v6, vcc_lo, v7, v9
	s_wait_alu 0xfffd
	s_delay_alu instid0(VALU_DEP_2) | instskip(SKIP_2) | instid1(VALU_DEP_1)
	v_sub_co_ci_u32_e32 v4, vcc_lo, v8, v4, vcc_lo
	s_and_b32 vcc_lo, exec_lo, s2
	s_wait_kmcnt 0x0
	v_mul_lo_u32 v7, s26, v4
	v_mul_lo_u32 v8, s27, v6
	v_mad_co_u64_u32 v[1:2], null, s26, v6, v[1:2]
	v_mul_lo_u32 v4, s24, v4
	v_mul_lo_u32 v9, s25, v6
	v_mad_co_u64_u32 v[60:61], null, s24, v6, v[60:61]
	s_delay_alu instid0(VALU_DEP_4) | instskip(NEXT) | instid1(VALU_DEP_2)
	v_add3_u32 v2, v8, v2, v7
	v_add3_u32 v61, v9, v61, v4
	s_wait_alu 0xfffe
	s_cbranch_vccnz .LBB0_8
; %bb.7:                                ;   in Loop: Header=BB0_2 Depth=1
	v_dual_mov_b32 v7, v64 :: v_dual_mov_b32 v8, v65
	s_branch .LBB0_2
.LBB0_8:
	s_load_b64 s[0:1], s[0:1], 0x28
	v_mul_hi_u32 v4, 0xaaaaaaab, v3
	s_lshl_b64 s[10:11], s[10:11], 3
                                        ; implicit-def: $vgpr62
	s_delay_alu instid0(VALU_DEP_1) | instskip(NEXT) | instid1(VALU_DEP_1)
	v_lshrrev_b32_e32 v4, 1, v4
	v_lshl_add_u32 v5, v4, 1, v4
	v_mul_hi_u32 v4, 0x6906907, v0
	s_delay_alu instid0(VALU_DEP_2)
	v_sub_nc_u32_e32 v3, v3, v5
	s_wait_kmcnt 0x0
	v_cmp_gt_u64_e32 vcc_lo, s[0:1], v[64:65]
	v_cmp_le_u64_e64 s0, s[0:1], v[64:65]
                                        ; implicit-def: $vgpr5
	scratch_store_b64 off, v[5:6], off      ; 8-byte Folded Spill
	s_and_saveexec_b32 s1, s0
	s_wait_alu 0xfffe
	s_xor_b32 s0, exec_lo, s1
	s_cbranch_execz .LBB0_10
; %bb.9:
	v_mul_u32_u24_e32 v1, 39, v4
                                        ; implicit-def: $vgpr4
	s_delay_alu instid0(VALU_DEP_1) | instskip(NEXT) | instid1(VALU_DEP_1)
	v_sub_nc_u32_e32 v62, v0, v1
	v_add_nc_u32_e32 v0, 39, v62
	scratch_store_b64 off, v[0:1], off      ; 8-byte Folded Spill
                                        ; implicit-def: $vgpr0
                                        ; implicit-def: $vgpr1_vgpr2
.LBB0_10:
	s_wait_alu 0xfffe
	s_or_saveexec_b32 s1, s0
	v_mul_u32_u24_e32 v254, 0x223, v3
	s_add_nc_u64 s[2:3], s[14:15], s[10:11]
	s_delay_alu instid0(VALU_DEP_1)
	v_lshlrev_b32_e32 v63, 4, v254
	s_wait_alu 0xfffe
	s_xor_b32 exec_lo, exec_lo, s1
	s_cbranch_execz .LBB0_12
; %bb.11:
	s_add_nc_u64 s[10:11], s[12:13], s[10:11]
	v_lshlrev_b64_e32 v[1:2], 4, v[1:2]
	s_load_b64 s[10:11], s[10:11], 0x0
	s_wait_kmcnt 0x0
	v_mul_lo_u32 v3, s11, v64
	v_mul_lo_u32 v7, s10, v65
	v_mad_co_u64_u32 v[5:6], null, s10, v64, 0
	s_delay_alu instid0(VALU_DEP_1) | instskip(SKIP_1) | instid1(VALU_DEP_2)
	v_add3_u32 v6, v6, v7, v3
	v_mul_u32_u24_e32 v7, 39, v4
	v_lshlrev_b64_e32 v[3:4], 4, v[5:6]
	s_delay_alu instid0(VALU_DEP_2) | instskip(NEXT) | instid1(VALU_DEP_1)
	v_sub_nc_u32_e32 v62, v0, v7
	v_lshlrev_b32_e32 v56, 4, v62
	s_delay_alu instid0(VALU_DEP_3) | instskip(SKIP_1) | instid1(VALU_DEP_4)
	v_add_co_u32 v0, s0, s4, v3
	s_wait_alu 0xf1ff
	v_add_co_ci_u32_e64 v3, s0, s5, v4, s0
	v_add_nc_u32_e32 v57, 39, v62
	s_delay_alu instid0(VALU_DEP_3) | instskip(SKIP_1) | instid1(VALU_DEP_3)
	v_add_co_u32 v0, s0, v0, v1
	s_wait_alu 0xf1ff
	v_add_co_ci_u32_e64 v1, s0, v3, v2, s0
	s_delay_alu instid0(VALU_DEP_2) | instskip(SKIP_1) | instid1(VALU_DEP_2)
	v_add_co_u32 v52, s0, v0, v56
	s_wait_alu 0xf1ff
	v_add_co_ci_u32_e64 v53, s0, 0, v1, s0
	s_clause 0xd
	global_load_b128 v[0:3], v[52:53], off
	global_load_b128 v[4:7], v[52:53], off offset:624
	global_load_b128 v[8:11], v[52:53], off offset:1248
	;; [unrolled: 1-line block ×13, first 2 shown]
	v_add3_u32 v56, 0, v63, v56
	scratch_store_b64 off, v[57:58], off    ; 8-byte Folded Spill
	s_wait_loadcnt 0xd
	ds_store_b128 v56, v[0:3]
	s_wait_loadcnt 0xc
	ds_store_b128 v56, v[4:7] offset:624
	s_wait_loadcnt 0xb
	ds_store_b128 v56, v[8:11] offset:1248
	s_wait_loadcnt 0xa
	ds_store_b128 v56, v[12:15] offset:1872
	s_wait_loadcnt 0x9
	ds_store_b128 v56, v[16:19] offset:2496
	s_wait_loadcnt 0x8
	ds_store_b128 v56, v[20:23] offset:3120
	s_wait_loadcnt 0x7
	ds_store_b128 v56, v[24:27] offset:3744
	s_wait_loadcnt 0x6
	ds_store_b128 v56, v[28:31] offset:4368
	s_wait_loadcnt 0x5
	ds_store_b128 v56, v[32:35] offset:4992
	s_wait_loadcnt 0x4
	ds_store_b128 v56, v[36:39] offset:5616
	s_wait_loadcnt 0x3
	ds_store_b128 v56, v[40:43] offset:6240
	s_wait_loadcnt 0x2
	ds_store_b128 v56, v[44:47] offset:6864
	s_wait_loadcnt 0x1
	ds_store_b128 v56, v[48:51] offset:7488
	s_wait_loadcnt 0x0
	ds_store_b128 v56, v[52:55] offset:8112
.LBB0_12:
	s_or_b32 exec_lo, exec_lo, s1
	v_lshlrev_b32_e32 v253, 4, v62
	v_add_nc_u32_e32 v66, 0, v63
	s_load_b64 s[2:3], s[2:3], 0x0
	global_wb scope:SCOPE_SE
	s_wait_storecnt_dscnt 0x0
	s_wait_kmcnt 0x0
	s_barrier_signal -1
	v_add_nc_u32_e32 v255, 0, v253
	v_add_nc_u32_e32 v124, v66, v253
	s_barrier_wait -1
	global_inv scope:SCOPE_SE
	s_mov_b32 s4, 0x4267c47c
	v_add_nc_u32_e32 v123, v255, v63
	s_mov_b32 s14, 0x42a4c3d2
	s_mov_b32 s12, 0x24c2f84
	;; [unrolled: 1-line block ×4, first 2 shown]
	ds_load_b128 v[8:11], v123 offset:672
	ds_load_b128 v[4:7], v124
	ds_load_b128 v[0:3], v123 offset:624
	ds_load_b128 v[12:15], v123 offset:1296
	;; [unrolled: 1-line block ×15, first 2 shown]
	s_mov_b32 s13, 0xbfe5384d
	s_mov_b32 s22, 0x66966769
	;; [unrolled: 1-line block ×9, first 2 shown]
	s_wait_dscnt 0xf
	v_add_f64_e32 v[16:17], v[4:5], v[8:9]
	v_add_f64_e32 v[18:19], v[6:7], v[10:11]
	s_wait_dscnt 0xd
	v_add_f64_e32 v[20:21], v[0:1], v[12:13]
	v_add_f64_e32 v[22:23], v[2:3], v[14:15]
	s_mov_b32 s29, 0xbfcea1e5
	s_mov_b32 s11, 0x3fec55a7
	;; [unrolled: 1-line block ×4, first 2 shown]
	s_wait_dscnt 0x2
	v_add_f64_e32 v[105:106], v[52:53], v[77:78]
	v_add_f64_e64 v[109:110], v[52:53], -v[77:78]
	v_add_f64_e32 v[103:104], v[50:51], v[75:76]
	v_add_f64_e64 v[107:108], v[50:51], -v[75:76]
	s_mov_b32 s39, 0x3fefc445
	s_mov_b32 s37, 0x3fddbe06
	;; [unrolled: 1-line block ×3, first 2 shown]
	s_wait_alu 0xfffe
	s_mov_b32 s36, s4
	s_wait_dscnt 0x1
	v_add_f64_e32 v[119:120], v[71:72], v[91:92]
	s_mov_b32 s26, 0xebaa3ed8
	s_mov_b32 s24, 0xb2365da1
	;; [unrolled: 1-line block ×14, first 2 shown]
	s_mov_b32 s1, exec_lo
	v_add_f64_e32 v[16:17], v[16:17], v[24:25]
	v_add_f64_e32 v[18:19], v[18:19], v[26:27]
	v_add_f64_e32 v[20:21], v[20:21], v[67:68]
	v_add_f64_e32 v[22:23], v[22:23], v[69:70]
	s_delay_alu instid0(VALU_DEP_4) | instskip(NEXT) | instid1(VALU_DEP_4)
	v_add_f64_e32 v[16:17], v[16:17], v[28:29]
	v_add_f64_e32 v[18:19], v[18:19], v[30:31]
	s_delay_alu instid0(VALU_DEP_4) | instskip(NEXT) | instid1(VALU_DEP_4)
	v_add_f64_e32 v[20:21], v[20:21], v[42:43]
	v_add_f64_e32 v[22:23], v[22:23], v[44:45]
	;; [unrolled: 3-line block ×7, first 2 shown]
	ds_load_b128 v[16:19], v123 offset:8064
	v_add_f64_e32 v[83:84], v[20:21], v[71:72]
	v_add_f64_e32 v[85:86], v[22:23], v[73:74]
	ds_load_b128 v[95:98], v123 offset:6000
	ds_load_b128 v[99:102], v123 offset:6048
	;; [unrolled: 1-line block ×5, first 2 shown]
	s_wait_dscnt 0x6
	v_add_f64_e32 v[87:88], v[48:49], v[81:82]
	ds_load_b128 v[133:136], v123 offset:7392
	ds_load_b128 v[137:140], v123 offset:8016
	;; [unrolled: 1-line block ×3, first 2 shown]
	v_add_f64_e32 v[89:90], v[46:47], v[79:80]
	global_wb scope:SCOPE_SE
	s_wait_dscnt 0x0
	s_barrier_signal -1
	s_barrier_wait -1
	global_inv scope:SCOPE_SE
	v_add_f64_e32 v[52:53], v[56:57], v[97:98]
	v_add_f64_e64 v[145:146], v[10:11], -v[18:19]
	v_add_f64_e64 v[147:148], v[8:9], -v[16:17]
	v_add_f64_e32 v[151:152], v[28:29], v[125:126]
	v_add_f64_e32 v[153:154], v[30:31], v[127:128]
	v_add_f64_e64 v[155:156], v[28:29], -v[125:126]
	v_add_f64_e64 v[157:158], v[30:31], -v[127:128]
	v_add_f64_e32 v[28:29], v[54:55], v[95:96]
	v_add_f64_e64 v[30:31], v[54:55], -v[95:96]
	v_add_f64_e64 v[163:164], v[24:25], -v[133:134]
	;; [unrolled: 1-line block ×3, first 2 shown]
	v_add_f64_e32 v[8:9], v[8:9], v[16:17]
	v_add_f64_e32 v[10:11], v[10:11], v[18:19]
	;; [unrolled: 1-line block ×3, first 2 shown]
	v_add_f64_e64 v[54:55], v[12:13], -v[20:21]
	v_add_f64_e32 v[113:114], v[32:33], v[99:100]
	v_add_f64_e32 v[111:112], v[34:35], v[101:102]
	;; [unrolled: 1-line block ×4, first 2 shown]
	v_add_f64_e64 v[75:76], v[32:33], -v[99:100]
	v_add_f64_e32 v[141:142], v[83:84], v[91:92]
	v_add_f64_e32 v[143:144], v[85:86], v[93:94]
	v_add_f64_e64 v[85:86], v[48:49], -v[81:82]
	v_add_f64_e64 v[48:49], v[56:57], -v[97:98]
	;; [unrolled: 1-line block ×4, first 2 shown]
	v_add_f64_e32 v[159:160], v[24:25], v[133:134]
	v_add_f64_e32 v[161:162], v[26:27], v[135:136]
	;; [unrolled: 1-line block ×3, first 2 shown]
	v_add_f64_e64 v[26:27], v[71:72], -v[91:92]
	v_add_f64_e64 v[34:35], v[73:74], -v[93:94]
	v_add_f64_e32 v[56:57], v[40:41], v[117:118]
	v_add_f64_e32 v[71:72], v[44:45], v[131:132]
	v_add_f64_e64 v[46:47], v[42:43], -v[129:130]
	v_add_f64_e64 v[73:74], v[44:45], -v[131:132]
	v_add_f64_e32 v[77:78], v[69:70], v[139:140]
	v_add_f64_e64 v[44:45], v[67:68], -v[137:138]
	v_add_f64_e32 v[93:94], v[14:15], v[22:23]
	v_add_f64_e64 v[91:92], v[14:15], -v[22:23]
	v_mul_f64_e32 v[169:170], s[14:15], v[145:146]
	v_mul_f64_e32 v[171:172], s[14:15], v[147:148]
	;; [unrolled: 1-line block ×12, first 2 shown]
	s_wait_alu 0xfffe
	v_mul_f64_e32 v[191:192], s[34:35], v[165:166]
	v_mul_f64_e32 v[187:188], s[28:29], v[157:158]
	;; [unrolled: 1-line block ×4, first 2 shown]
	v_add_f64_e32 v[79:80], v[36:37], v[79:80]
	v_add_f64_e32 v[167:168], v[58:59], v[81:82]
	v_add_f64_e64 v[58:59], v[40:41], -v[117:118]
	v_add_f64_e32 v[95:96], v[141:142], v[95:96]
	v_add_f64_e32 v[97:98], v[143:144], v[97:98]
	v_mul_f64_e32 v[141:142], s[4:5], v[145:146]
	v_mul_f64_e32 v[143:144], s[4:5], v[147:148]
	v_add_f64_e32 v[40:41], v[42:43], v[129:130]
	v_add_f64_e32 v[42:43], v[67:68], v[137:138]
	v_add_f64_e64 v[81:82], v[69:70], -v[139:140]
	v_mul_f64_e32 v[67:68], s[22:23], v[147:148]
	v_mul_f64_e32 v[69:70], s[18:19], v[145:146]
	;; [unrolled: 1-line block ×4, first 2 shown]
	v_add_f64_e32 v[36:37], v[38:39], v[115:116]
	v_add_f64_e64 v[38:39], v[38:39], -v[115:116]
	v_mul_f64_e32 v[235:236], s[36:37], v[155:156]
	v_mul_f64_e32 v[237:238], s[14:15], v[155:156]
	;; [unrolled: 1-line block ×3, first 2 shown]
	v_fma_f64 v[199:200], v[8:9], s[20:21], -v[169:170]
	v_fma_f64 v[201:202], v[10:11], s[20:21], v[171:172]
	v_fma_f64 v[171:172], v[10:11], s[20:21], -v[171:172]
	v_fma_f64 v[213:214], v[10:11], s[16:17], v[12:13]
	v_fma_f64 v[169:170], v[8:9], s[20:21], v[169:170]
	v_fma_f64 v[203:204], v[8:9], s[26:27], -v[173:174]
	v_fma_f64 v[173:174], v[8:9], s[26:27], v[173:174]
	v_fma_f64 v[209:210], v[10:11], s[24:25], v[175:176]
	v_fma_f64 v[211:212], v[8:9], s[16:17], -v[177:178]
	v_fma_f64 v[175:176], v[10:11], s[24:25], -v[175:176]
	v_fma_f64 v[177:178], v[8:9], s[16:17], v[177:178]
	v_fma_f64 v[215:216], v[8:9], s[30:31], -v[14:15]
	v_fma_f64 v[12:13], v[10:11], s[16:17], -v[12:13]
	;; [unrolled: 1-line block ×3, first 2 shown]
	v_fma_f64 v[181:182], v[151:152], s[26:27], v[181:182]
	v_fma_f64 v[221:222], v[151:152], s[30:31], -v[187:188]
	v_add_f64_e32 v[79:80], v[79:80], v[99:100]
	v_add_f64_e32 v[99:100], v[167:168], v[101:102]
	v_mul_f64_e32 v[101:102], s[28:29], v[165:166]
	v_add_f64_e32 v[95:96], v[95:96], v[115:116]
	v_add_f64_e32 v[97:98], v[97:98], v[117:118]
	v_fma_f64 v[195:196], v[8:9], s[10:11], -v[141:142]
	v_fma_f64 v[141:142], v[8:9], s[10:11], v[141:142]
	v_fma_f64 v[197:198], v[10:11], s[10:11], v[143:144]
	v_fma_f64 v[143:144], v[10:11], s[10:11], -v[143:144]
	v_mul_f64_e32 v[167:168], s[28:29], v[163:164]
	v_mul_f64_e32 v[115:116], s[34:35], v[163:164]
	;; [unrolled: 1-line block ×3, first 2 shown]
	v_fma_f64 v[205:206], v[10:11], s[26:27], v[67:68]
	v_fma_f64 v[207:208], v[8:9], s[24:25], -v[69:70]
	v_fma_f64 v[67:68], v[10:11], s[26:27], -v[67:68]
	v_fma_f64 v[69:70], v[8:9], s[24:25], v[69:70]
	v_fma_f64 v[8:9], v[8:9], s[30:31], v[14:15]
	;; [unrolled: 1-line block ×3, first 2 shown]
	v_mul_f64_e32 v[165:166], s[36:37], v[165:166]
	v_fma_f64 v[10:11], v[10:11], s[30:31], -v[145:146]
	v_mul_f64_e32 v[145:146], s[36:37], v[163:164]
	v_fma_f64 v[163:164], v[159:160], s[20:21], -v[147:148]
	v_add_f64_e32 v[199:200], v[4:5], v[199:200]
	v_add_f64_e32 v[201:202], v[6:7], v[201:202]
	;; [unrolled: 1-line block ×13, first 2 shown]
	v_fma_f64 v[187:188], v[151:152], s[30:31], v[187:188]
	v_fma_f64 v[223:224], v[151:152], s[24:25], -v[189:190]
	v_fma_f64 v[189:190], v[151:152], s[24:25], v[189:190]
	v_add_f64_e32 v[79:80], v[79:80], v[125:126]
	v_add_f64_e32 v[99:100], v[99:100], v[127:128]
	v_fma_f64 v[125:126], v[161:162], s[20:21], v[179:180]
	v_add_f64_e32 v[95:96], v[95:96], v[129:130]
	v_add_f64_e32 v[97:98], v[97:98], v[131:132]
	v_fma_f64 v[127:128], v[159:160], s[20:21], v[147:148]
	v_fma_f64 v[147:148], v[161:162], s[20:21], -v[179:180]
	v_fma_f64 v[179:180], v[159:160], s[24:25], -v[183:184]
	v_fma_f64 v[131:132], v[159:160], s[24:25], v[183:184]
	v_fma_f64 v[183:184], v[161:162], s[24:25], -v[185:186]
	v_add_f64_e32 v[141:142], v[4:5], v[141:142]
	v_add_f64_e32 v[143:144], v[6:7], v[143:144]
	v_fma_f64 v[129:130], v[161:162], s[24:25], v[185:186]
	v_fma_f64 v[185:186], v[159:160], s[30:31], -v[101:102]
	v_add_f64_e32 v[195:196], v[4:5], v[195:196]
	v_add_f64_e32 v[197:198], v[6:7], v[197:198]
	;; [unrolled: 1-line block ×9, first 2 shown]
	v_fma_f64 v[8:9], v[161:162], s[30:31], v[167:168]
	v_fma_f64 v[10:11], v[159:160], s[30:31], v[101:102]
	v_fma_f64 v[101:102], v[161:162], s[30:31], -v[167:168]
	v_fma_f64 v[167:168], v[159:160], s[16:17], -v[191:192]
	;; [unrolled: 1-line block ×3, first 2 shown]
	v_fma_f64 v[245:246], v[153:154], s[24:25], v[233:234]
	v_fma_f64 v[233:234], v[153:154], s[24:25], -v[233:234]
	v_fma_f64 v[247:248], v[153:154], s[10:11], v[235:236]
	v_fma_f64 v[235:236], v[153:154], s[10:11], -v[235:236]
	v_fma_f64 v[249:250], v[153:154], s[20:21], v[237:238]
	v_fma_f64 v[237:238], v[153:154], s[20:21], -v[237:238]
	v_add_f64_e32 v[133:134], v[79:80], v[133:134]
	v_add_f64_e32 v[135:136], v[99:100], v[135:136]
	v_fma_f64 v[79:80], v[161:162], s[16:17], v[115:116]
	v_add_f64_e32 v[137:138], v[95:96], v[137:138]
	v_mul_f64_e32 v[95:96], s[36:37], v[157:158]
	v_add_f64_e32 v[139:140], v[97:98], v[139:140]
	v_fma_f64 v[97:98], v[161:162], s[26:27], v[193:194]
	v_fma_f64 v[99:100], v[159:160], s[16:17], v[191:192]
	v_fma_f64 v[191:192], v[159:160], s[26:27], -v[117:118]
	v_fma_f64 v[117:118], v[159:160], s[26:27], v[117:118]
	v_fma_f64 v[159:160], v[159:160], s[10:11], v[165:166]
	;; [unrolled: 1-line block ×3, first 2 shown]
	v_add_f64_e32 v[127:128], v[127:128], v[141:142]
	v_add_f64_e32 v[141:142], v[147:148], v[143:144]
	;; [unrolled: 1-line block ×3, first 2 shown]
	v_fma_f64 v[115:116], v[161:162], s[16:17], -v[115:116]
	v_fma_f64 v[193:194], v[161:162], s[26:27], -v[193:194]
	v_fma_f64 v[145:146], v[161:162], s[10:11], -v[145:146]
	v_mul_f64_e32 v[161:162], s[14:15], v[157:158]
	v_mul_f64_e32 v[157:158], s[12:13], v[157:158]
	v_add_f64_e32 v[125:126], v[125:126], v[197:198]
	v_add_f64_e32 v[143:144], v[179:180], v[199:200]
	v_add_f64_e32 v[131:132], v[131:132], v[169:170]
	v_mul_f64_e32 v[179:180], s[34:35], v[75:76]
	v_add_f64_e32 v[10:11], v[10:11], v[173:174]
	v_add_f64_e32 v[67:68], v[101:102], v[67:68]
	;; [unrolled: 1-line block ×5, first 2 shown]
	v_mul_f64_e32 v[183:184], s[36:37], v[75:76]
	v_mul_f64_e32 v[201:202], s[14:15], v[85:86]
	v_add_f64_e32 v[16:17], v[133:134], v[16:17]
	v_add_f64_e32 v[18:19], v[135:136], v[18:19]
	;; [unrolled: 1-line block ×3, first 2 shown]
	v_mul_f64_e32 v[79:80], s[20:21], v[77:78]
	v_fma_f64 v[225:226], v[151:152], s[10:11], -v[95:96]
	v_fma_f64 v[227:228], v[151:152], s[10:11], v[95:96]
	v_mul_f64_e32 v[95:96], s[22:23], v[155:156]
	v_add_f64_e32 v[171:172], v[97:98], v[213:214]
	v_mul_f64_e32 v[97:98], s[10:11], v[93:94]
	v_add_f64_e32 v[99:100], v[99:100], v[69:70]
	;; [unrolled: 2-line block ×3, first 2 shown]
	v_add_f64_e32 v[4:5], v[159:160], v[4:5]
	v_add_f64_e32 v[117:118], v[117:118], v[177:178]
	v_mul_f64_e32 v[177:178], s[34:35], v[149:150]
	v_add_f64_e32 v[169:170], v[191:192], v[211:212]
	v_add_f64_e32 v[12:13], v[193:194], v[12:13]
	;; [unrolled: 1-line block ×3, first 2 shown]
	v_fma_f64 v[229:230], v[151:152], s[20:21], -v[161:162]
	v_fma_f64 v[161:162], v[151:152], s[20:21], v[161:162]
	v_fma_f64 v[231:232], v[151:152], s[16:17], -v[157:158]
	v_fma_f64 v[151:152], v[151:152], s[16:17], v[157:158]
	v_mul_f64_e32 v[157:158], s[28:29], v[155:156]
	v_mul_f64_e32 v[155:156], s[12:13], v[155:156]
	v_add_f64_e32 v[127:128], v[181:182], v[127:128]
	v_mul_f64_e32 v[181:182], s[36:37], v[149:150]
	v_add_f64_e32 v[143:144], v[221:222], v[143:144]
	v_add_f64_e32 v[131:132], v[187:188], v[131:132]
	v_mul_f64_e32 v[187:188], s[12:13], v[85:86]
	v_mul_f64_e32 v[193:194], s[38:39], v[85:86]
	v_add_f64_e32 v[10:11], v[189:190], v[10:11]
	v_add_f64_e32 v[8:9], v[245:246], v[8:9]
	;; [unrolled: 1-line block ×3, first 2 shown]
	v_fma_f64 v[67:68], v[111:112], s[16:17], v[179:180]
	v_add_f64_e32 v[115:116], v[115:116], v[175:176]
	v_add_f64_e32 v[175:176], v[217:218], v[215:216]
	v_mul_f64_e32 v[211:212], s[36:37], v[85:86]
	v_mul_f64_e32 v[213:214], s[36:37], v[83:84]
	;; [unrolled: 1-line block ×3, first 2 shown]
	v_add_f64_e32 v[167:168], v[247:248], v[167:168]
	v_fma_f64 v[145:146], v[44:45], s[14:15], v[79:80]
	v_add_f64_e32 v[199:200], v[225:226], v[101:102]
	v_fma_f64 v[101:102], v[111:112], s[16:17], -v[179:180]
	v_fma_f64 v[239:240], v[153:154], s[26:27], v[95:96]
	v_fma_f64 v[241:242], v[153:154], s[26:27], -v[95:96]
	v_mul_f64_e32 v[95:96], s[4:5], v[91:92]
	v_fma_f64 v[165:166], v[54:55], s[4:5], v[97:98]
	v_fma_f64 v[159:160], v[42:43], s[20:21], -v[69:70]
	v_mul_f64_e32 v[179:180], s[14:15], v[83:84]
	v_add_f64_e32 v[171:172], v[249:250], v[171:172]
	v_fma_f64 v[189:190], v[113:114], s[16:17], -v[177:178]
	v_fma_f64 v[177:178], v[113:114], s[16:17], v[177:178]
	v_add_f64_e32 v[12:13], v[237:238], v[12:13]
	v_add_f64_e32 v[169:170], v[229:230], v[169:170]
	;; [unrolled: 1-line block ×4, first 2 shown]
	v_fma_f64 v[243:244], v[153:154], s[30:31], v[157:158]
	v_fma_f64 v[157:158], v[153:154], s[30:31], -v[157:158]
	v_fma_f64 v[251:252], v[153:154], s[16:17], v[155:156]
	v_fma_f64 v[153:154], v[153:154], s[16:17], -v[155:156]
	v_add_f64_e32 v[155:156], v[163:164], v[195:196]
	v_add_f64_e32 v[163:164], v[185:186], v[203:204]
	v_mul_f64_e32 v[195:196], s[38:39], v[83:84]
	v_add_f64_e32 v[203:204], v[227:228], v[99:100]
	v_fma_f64 v[205:206], v[113:114], s[10:11], -v[181:182]
	v_mul_f64_e32 v[99:100], s[22:23], v[73:74]
	v_fma_f64 v[181:182], v[113:114], s[10:11], v[181:182]
	v_add_f64_e32 v[115:116], v[235:236], v[115:116]
	v_add_f64_e32 v[175:176], v[231:232], v[175:176]
	;; [unrolled: 1-line block ×4, first 2 shown]
	v_fma_f64 v[173:174], v[50:51], s[10:11], -v[95:96]
	v_add_f64_e32 v[165:166], v[2:3], v[165:166]
	v_add_f64_e32 v[143:144], v[189:190], v[143:144]
	v_fma_f64 v[189:190], v[89:90], s[26:27], -v[193:194]
	v_add_f64_e32 v[131:132], v[177:178], v[131:132]
	v_fma_f64 v[177:178], v[89:90], s[26:27], v[193:194]
	v_add_f64_e32 v[129:130], v[243:244], v[129:130]
	v_add_f64_e32 v[147:148], v[157:158], v[147:148]
	v_mul_f64_e32 v[157:158], s[12:13], v[83:84]
	v_add_f64_e32 v[14:15], v[251:252], v[14:15]
	v_add_f64_e32 v[155:156], v[219:220], v[155:156]
	;; [unrolled: 1-line block ×3, first 2 shown]
	v_fma_f64 v[193:194], v[87:88], s[26:27], -v[195:196]
	v_fma_f64 v[207:208], v[87:88], s[26:27], v[195:196]
	v_fma_f64 v[195:196], v[89:90], s[20:21], -v[201:202]
	v_add_f64_e32 v[6:7], v[153:154], v[6:7]
	v_mul_f64_e32 v[219:220], s[18:19], v[83:84]
	v_add_f64_e32 v[10:11], v[181:182], v[10:11]
	v_mul_f64_e32 v[153:154], s[28:29], v[107:108]
	v_mul_f64_e32 v[181:182], s[12:13], v[109:110]
	v_add_f64_e32 v[173:174], v[0:1], v[173:174]
	v_add_f64_e32 v[145:146], v[145:146], v[165:166]
	v_mul_f64_e32 v[165:166], s[18:19], v[75:76]
	v_add_f64_e32 v[143:144], v[189:190], v[143:144]
	v_add_f64_e32 v[131:132], v[177:178], v[131:132]
	;; [unrolled: 1-line block ×4, first 2 shown]
	v_mul_f64_e32 v[101:102], s[26:27], v[71:72]
	v_mad_u32_u24 v67, 0xd0, v62, v66
	v_add_f64_e32 v[163:164], v[205:206], v[163:164]
	v_mul_f64_e32 v[205:206], s[42:43], v[75:76]
	v_add_f64_e32 v[159:160], v[159:160], v[173:174]
	v_mul_f64_e32 v[173:174], s[18:19], v[149:150]
	v_fma_f64 v[191:192], v[111:112], s[24:25], v[165:166]
	v_fma_f64 v[165:166], v[111:112], s[24:25], -v[165:166]
	v_add_f64_e32 v[129:130], v[207:208], v[129:130]
	v_add_f64_e32 v[189:190], v[193:194], v[147:148]
	v_fma_f64 v[147:148], v[40:41], s[26:27], -v[99:100]
	v_fma_f64 v[193:194], v[46:47], s[22:23], v[101:102]
	v_mul_f64_e32 v[207:208], s[44:45], v[83:84]
	v_add_f64_e32 v[163:164], v[195:196], v[163:164]
	v_mul_f64_e32 v[195:196], s[44:45], v[85:86]
	v_fma_f64 v[151:152], v[111:112], s[20:21], v[205:206]
	v_mul_f64_e32 v[83:84], s[12:13], v[48:49]
	v_mul_f64_e32 v[85:86], s[16:17], v[52:53]
	v_fma_f64 v[185:186], v[113:114], s[24:25], -v[173:174]
	v_fma_f64 v[173:174], v[113:114], s[24:25], v[173:174]
	v_add_f64_e32 v[125:126], v[191:192], v[125:126]
	v_fma_f64 v[191:192], v[89:90], s[16:17], -v[187:188]
	v_fma_f64 v[187:188], v[89:90], s[16:17], v[187:188]
	v_add_f64_e32 v[141:142], v[165:166], v[141:142]
	v_mul_f64_e32 v[165:166], s[22:23], v[149:150]
	v_add_f64_e32 v[147:148], v[147:148], v[159:160]
	v_add_f64_e32 v[145:146], v[193:194], v[145:146]
	v_fma_f64 v[193:194], v[38:39], s[18:19], v[121:122]
	v_add_f64_e32 v[14:15], v[151:152], v[14:15]
	v_mul_f64_e32 v[151:152], s[18:19], v[107:108]
	v_add_f64_e32 v[155:156], v[185:186], v[155:156]
	v_fma_f64 v[185:186], v[111:112], s[10:11], v[183:184]
	v_add_f64_e32 v[127:128], v[173:174], v[127:128]
	v_fma_f64 v[173:174], v[87:88], s[16:17], v[157:158]
	v_fma_f64 v[183:184], v[111:112], s[10:11], -v[183:184]
	v_fma_f64 v[157:158], v[87:88], s[16:17], -v[157:158]
	v_fma_f64 v[177:178], v[113:114], s[26:27], -v[165:166]
	v_fma_f64 v[165:166], v[113:114], s[26:27], v[165:166]
	v_add_f64_e32 v[145:146], v[193:194], v[145:146]
	v_add_f64_e32 v[155:156], v[191:192], v[155:156]
	;; [unrolled: 1-line block ×3, first 2 shown]
	v_fma_f64 v[185:186], v[87:88], s[20:21], v[179:180]
	v_mul_f64_e32 v[191:192], s[22:23], v[75:76]
	v_add_f64_e32 v[125:126], v[173:174], v[125:126]
	v_mul_f64_e32 v[173:174], s[44:45], v[149:150]
	v_add_f64_e32 v[127:128], v[187:188], v[127:128]
	v_mul_f64_e32 v[187:188], s[44:45], v[75:76]
	v_mul_f64_e32 v[149:150], s[42:43], v[149:150]
	;; [unrolled: 1-line block ×3, first 2 shown]
	v_add_f64_e32 v[183:184], v[183:184], v[197:198]
	v_fma_f64 v[197:198], v[89:90], s[20:21], v[201:202]
	v_add_f64_e32 v[141:142], v[157:158], v[141:142]
	v_mul_f64_e32 v[157:158], s[28:29], v[109:110]
	v_fma_f64 v[179:180], v[87:88], s[20:21], -v[179:180]
	v_add_f64_e32 v[177:178], v[177:178], v[199:200]
	v_add_f64_e32 v[165:166], v[165:166], v[203:204]
	v_fma_f64 v[199:200], v[89:90], s[30:31], -v[195:196]
	v_fma_f64 v[195:196], v[89:90], s[30:31], v[195:196]
	v_fma_f64 v[203:204], v[87:88], s[30:31], -v[207:208]
	v_mul_f64_e32 v[201:202], s[42:43], v[109:110]
	v_add_f64_e32 v[185:186], v[185:186], v[8:9]
	v_fma_f64 v[8:9], v[111:112], s[26:27], v[191:192]
	v_fma_f64 v[191:192], v[111:112], s[26:27], -v[191:192]
	v_fma_f64 v[209:210], v[113:114], s[30:31], -v[173:174]
	v_fma_f64 v[173:174], v[113:114], s[30:31], v[173:174]
	v_fma_f64 v[161:162], v[111:112], s[30:31], v[187:188]
	v_fma_f64 v[187:188], v[111:112], s[30:31], -v[187:188]
	v_fma_f64 v[215:216], v[113:114], s[20:21], -v[149:150]
	v_fma_f64 v[113:114], v[113:114], s[20:21], v[149:150]
	v_fma_f64 v[111:112], v[111:112], s[20:21], -v[205:206]
	v_fma_f64 v[159:160], v[36:37], s[24:25], -v[75:76]
	v_mul_f64_e32 v[205:206], s[36:37], v[107:108]
	v_add_f64_e32 v[197:198], v[197:198], v[10:11]
	v_mul_f64_e32 v[149:150], s[36:37], v[109:110]
	v_add_f64_e32 v[179:180], v[179:180], v[183:184]
	v_add_f64_e32 v[177:178], v[199:200], v[177:178]
	;; [unrolled: 1-line block ×3, first 2 shown]
	v_fma_f64 v[195:196], v[103:104], s[16:17], -v[181:182]
	v_fma_f64 v[181:182], v[103:104], s[16:17], v[181:182]
	v_add_f64_e32 v[8:9], v[8:9], v[167:168]
	v_mul_f64_e32 v[167:168], s[12:13], v[107:108]
	v_add_f64_e32 v[115:116], v[191:192], v[115:116]
	v_fma_f64 v[191:192], v[87:88], s[30:31], v[207:208]
	v_add_f64_e32 v[169:170], v[209:210], v[169:170]
	v_add_f64_e32 v[161:162], v[161:162], v[171:172]
	v_mul_f64_e32 v[171:172], s[42:43], v[107:108]
	v_add_f64_e32 v[117:118], v[173:174], v[117:118]
	v_fma_f64 v[173:174], v[89:90], s[10:11], -v[211:212]
	v_add_f64_e32 v[12:13], v[187:188], v[12:13]
	v_fma_f64 v[187:188], v[87:88], s[10:11], v[213:214]
	v_fma_f64 v[209:210], v[89:90], s[10:11], v[211:212]
	v_fma_f64 v[211:212], v[87:88], s[10:11], -v[213:214]
	v_add_f64_e32 v[4:5], v[113:114], v[4:5]
	v_fma_f64 v[113:114], v[89:90], s[24:25], -v[217:218]
	v_add_f64_e32 v[6:7], v[111:112], v[6:7]
	v_fma_f64 v[111:112], v[87:88], s[24:25], v[219:220]
	v_mul_f64_e32 v[107:108], s[38:39], v[107:108]
	v_fma_f64 v[213:214], v[89:90], s[24:25], v[217:218]
	v_fma_f64 v[217:218], v[87:88], s[24:25], -v[219:220]
	v_add_f64_e32 v[10:11], v[159:160], v[147:148]
	v_fma_f64 v[147:148], v[28:29], s[16:17], -v[83:84]
	v_fma_f64 v[159:160], v[30:31], s[12:13], v[85:86]
	v_mul_f64_e32 v[87:88], s[28:29], v[34:35]
	v_mul_f64_e32 v[89:90], s[30:31], v[32:33]
	;; [unrolled: 1-line block ×3, first 2 shown]
	v_add_f64_e32 v[175:176], v[215:216], v[175:176]
	v_mul_f64_e32 v[109:110], s[38:39], v[109:110]
	v_fma_f64 v[215:216], v[103:104], s[30:31], -v[157:158]
	v_fma_f64 v[219:220], v[105:106], s[30:31], v[153:154]
	v_fma_f64 v[157:158], v[103:104], s[30:31], v[157:158]
	v_fma_f64 v[153:154], v[105:106], s[30:31], -v[153:154]
	v_fma_f64 v[183:184], v[103:104], s[10:11], -v[149:150]
	v_fma_f64 v[193:194], v[105:106], s[10:11], v[205:206]
	v_fma_f64 v[199:200], v[105:106], s[10:11], -v[205:206]
	v_fma_f64 v[149:150], v[103:104], s[10:11], v[149:150]
	v_add_f64_e32 v[203:204], v[203:204], v[115:116]
	v_fma_f64 v[115:116], v[105:106], s[16:17], v[167:168]
	v_add_f64_e32 v[191:192], v[191:192], v[8:9]
	v_fma_f64 v[167:168], v[105:106], s[16:17], -v[167:168]
	v_add_f64_e32 v[8:9], v[137:138], v[20:21]
	v_add_f64_e32 v[169:170], v[173:174], v[169:170]
	v_fma_f64 v[173:174], v[103:104], s[20:21], -v[201:202]
	v_add_f64_e32 v[161:162], v[187:188], v[161:162]
	v_add_f64_e32 v[117:118], v[209:210], v[117:118]
	;; [unrolled: 1-line block ×3, first 2 shown]
	v_fma_f64 v[209:210], v[105:106], s[24:25], v[151:152]
	v_fma_f64 v[151:152], v[105:106], s[24:25], -v[151:152]
	v_fma_f64 v[187:188], v[105:106], s[20:21], v[171:172]
	v_add_f64_e32 v[14:15], v[111:112], v[14:15]
	v_fma_f64 v[221:222], v[105:106], s[26:27], v[107:108]
	v_add_f64_e32 v[213:214], v[213:214], v[4:5]
	v_add_f64_e32 v[217:218], v[217:218], v[6:7]
	v_fma_f64 v[223:224], v[105:106], s[26:27], -v[107:108]
	v_add_f64_e32 v[225:226], v[147:148], v[10:11]
	v_add_f64_e32 v[159:160], v[159:160], v[145:146]
	v_fma_f64 v[227:228], v[119:120], s[30:31], -v[87:88]
	v_fma_f64 v[229:230], v[26:27], s[28:29], v[89:90]
	v_fma_f64 v[205:206], v[103:104], s[24:25], -v[207:208]
	v_add_f64_e32 v[175:176], v[113:114], v[175:176]
	v_fma_f64 v[211:212], v[103:104], s[26:27], -v[109:110]
	v_fma_f64 v[109:110], v[103:104], s[26:27], v[109:110]
	v_fma_f64 v[207:208], v[103:104], s[24:25], v[207:208]
	;; [unrolled: 1-line block ×3, first 2 shown]
	v_fma_f64 v[171:172], v[105:106], s[20:21], -v[171:172]
	v_add_f64_e32 v[10:11], v[139:140], v[22:23]
	v_add_f64_e32 v[4:5], v[157:158], v[127:128]
	;; [unrolled: 1-line block ×12, first 2 shown]
	v_mov_b32_e32 v177, v66
	v_add_f64_e32 v[135:136], v[209:210], v[161:162]
	v_add_f64_e32 v[147:148], v[151:152], v[12:13]
	;; [unrolled: 1-line block ×15, first 2 shown]
	ds_store_b128 v67, v[16:19]
	ds_store_b128 v67, v[20:23] offset:16
	ds_store_b128 v67, v[103:106] offset:32
	;; [unrolled: 1-line block ×12, first 2 shown]
	v_cmpx_gt_u32_e32 3, v62
	s_cbranch_execz .LBB0_14
; %bb.13:
	v_mul_f64_e32 v[125:126], s[30:31], v[93:94]
	v_mul_f64_e32 v[111:112], s[28:29], v[91:92]
	;; [unrolled: 1-line block ×37, first 2 shown]
	v_mov_b32_e32 v66, v124
	v_fma_f64 v[161:162], v[54:55], s[44:45], v[125:126]
	v_fma_f64 v[163:164], v[50:51], s[30:31], v[111:112]
	v_fma_f64 v[125:126], v[54:55], s[28:29], v[125:126]
	v_fma_f64 v[217:218], v[44:45], s[4:5], v[113:114]
	v_fma_f64 v[219:220], v[42:43], s[10:11], v[109:110]
	v_fma_f64 v[113:114], v[44:45], s[36:37], v[113:114]
	v_fma_f64 v[111:112], v[50:51], s[30:31], -v[111:112]
	v_fma_f64 v[221:222], v[54:55], s[34:35], v[115:116]
	v_fma_f64 v[223:224], v[50:51], s[16:17], v[117:118]
	v_fma_f64 v[115:116], v[54:55], s[12:13], v[115:116]
	v_fma_f64 v[117:118], v[50:51], s[16:17], -v[117:118]
	v_fma_f64 v[229:230], v[54:55], s[40:41], v[127:128]
	v_fma_f64 v[231:232], v[50:51], s[24:25], v[129:130]
	v_fma_f64 v[127:128], v[54:55], s[18:19], v[127:128]
	;; [unrolled: 4-line block ×3, first 2 shown]
	v_fma_f64 v[239:240], v[50:51], s[20:21], v[91:92]
	v_fma_f64 v[54:55], v[54:55], s[14:15], v[93:94]
	v_add_f64_e64 v[20:21], v[97:98], -v[20:21]
	v_fma_f64 v[225:226], v[46:47], s[34:35], v[105:106]
	v_fma_f64 v[105:106], v[46:47], s[12:13], v[105:106]
	v_fma_f64 v[109:110], v[42:43], s[10:11], -v[109:110]
	v_fma_f64 v[235:236], v[50:51], s[26:27], v[137:138]
	v_fma_f64 v[137:138], v[50:51], s[26:27], -v[137:138]
	v_fma_f64 v[50:51], v[50:51], s[20:21], -v[91:92]
	v_add_f64_e32 v[18:19], v[18:19], v[95:96]
	v_fma_f64 v[91:92], v[46:47], s[42:43], v[131:132]
	v_fma_f64 v[93:94], v[44:45], s[22:23], v[133:134]
	;; [unrolled: 1-line block ×5, first 2 shown]
	v_fma_f64 v[141:142], v[42:43], s[26:27], -v[141:142]
	v_fma_f64 v[241:242], v[46:47], s[4:5], v[143:144]
	v_fma_f64 v[243:244], v[44:45], s[12:13], v[145:146]
	;; [unrolled: 1-line block ×4, first 2 shown]
	v_add_f64_e32 v[161:162], v[2:3], v[161:162]
	v_add_f64_e32 v[163:164], v[0:1], v[163:164]
	;; [unrolled: 1-line block ×3, first 2 shown]
	v_fma_f64 v[245:246], v[44:45], s[44:45], v[153:154]
	v_fma_f64 v[249:250], v[42:43], s[30:31], v[157:158]
	;; [unrolled: 1-line block ×3, first 2 shown]
	v_add_f64_e32 v[111:112], v[0:1], v[111:112]
	v_add_f64_e32 v[221:222], v[2:3], v[221:222]
	;; [unrolled: 1-line block ×6, first 2 shown]
	v_fma_f64 v[157:158], v[42:43], s[30:31], -v[157:158]
	v_fma_f64 v[251:252], v[46:47], s[44:45], v[71:72]
	v_add_f64_e32 v[129:130], v[0:1], v[129:130]
	v_dual_mov_b32 v124, v253 :: v_dual_mov_b32 v253, v63
	v_dual_mov_b32 v63, v177 :: v_dual_mov_b32 v178, v88
	;; [unrolled: 1-line block ×4, first 2 shown]
	v_mov_b32_e32 v83, v75
	v_fma_f64 v[75:76], v[42:43], s[24:25], -v[81:82]
	v_add_f64_e32 v[233:234], v[2:3], v[233:234]
	v_add_f64_e32 v[135:136], v[2:3], v[135:136]
	;; [unrolled: 1-line block ×3, first 2 shown]
	v_add_f64_e64 v[16:17], v[79:80], -v[16:17]
	v_mul_f64_e32 v[22:23], s[26:27], v[40:41]
	v_mul_f64_e32 v[167:168], s[42:43], v[58:59]
	;; [unrolled: 1-line block ×3, first 2 shown]
	scratch_store_b64 off, v[24:25], off offset:8 ; 8-byte Folded Spill
	v_mul_f64_e32 v[183:184], s[30:31], v[56:57]
	v_mul_f64_e32 v[185:186], s[44:45], v[58:59]
	;; [unrolled: 1-line block ×5, first 2 shown]
	v_add_f64_e32 v[161:162], v[217:218], v[161:162]
	v_add_f64_e32 v[163:164], v[219:220], v[163:164]
	;; [unrolled: 1-line block ×3, first 2 shown]
	v_fma_f64 v[217:218], v[42:43], s[16:17], v[149:150]
	v_fma_f64 v[149:150], v[42:43], s[16:17], -v[149:150]
	v_fma_f64 v[219:220], v[46:47], s[18:19], v[151:152]
	v_fma_f64 v[151:152], v[46:47], s[40:41], v[151:152]
	;; [unrolled: 1-line block ×3, first 2 shown]
	v_add_f64_e32 v[71:72], v[2:3], v[127:128]
	v_fma_f64 v[127:128], v[44:45], s[18:19], v[77:78]
	v_fma_f64 v[44:45], v[44:45], s[40:41], v[77:78]
	v_add_f64_e32 v[77:78], v[2:3], v[237:238]
	v_fma_f64 v[42:43], v[42:43], s[24:25], v[81:82]
	v_add_f64_e32 v[81:82], v[0:1], v[239:240]
	v_add_f64_e32 v[2:3], v[2:3], v[20:21]
	v_mul_f64_e32 v[213:214], s[36:37], v[58:59]
	v_mul_f64_e32 v[56:57], s[16:17], v[56:57]
	;; [unrolled: 1-line block ×3, first 2 shown]
	v_fma_f64 v[227:228], v[40:41], s[16:17], v[107:108]
	v_fma_f64 v[107:108], v[40:41], s[16:17], -v[107:108]
	v_fma_f64 v[95:96], v[40:41], s[20:21], v[139:140]
	v_fma_f64 v[139:140], v[40:41], s[20:21], -v[139:140]
	;; [unrolled: 2-line block ×4, first 2 shown]
	v_add_f64_e32 v[231:232], v[0:1], v[231:232]
	v_dual_mov_b32 v24, v89 :: v_dual_mov_b32 v25, v90
	v_dual_mov_b32 v90, v86 :: v_dual_mov_b32 v89, v85
	;; [unrolled: 1-line block ×3, first 2 shown]
	v_fma_f64 v[121:122], v[38:39], s[14:15], v[165:166]
	v_add_f64_e32 v[137:138], v[0:1], v[137:138]
	v_add_f64_e32 v[50:51], v[0:1], v[50:51]
	;; [unrolled: 1-line block ×10, first 2 shown]
	v_fma_f64 v[18:19], v[40:41], s[30:31], v[73:74]
	v_add_f64_e32 v[69:70], v[133:134], v[115:116]
	v_fma_f64 v[40:41], v[40:41], s[30:31], -v[73:74]
	v_add_f64_e32 v[73:74], v[141:142], v[117:118]
	v_add_f64_e64 v[79:80], v[101:102], -v[103:104]
	v_add_f64_e32 v[129:130], v[149:150], v[129:130]
	v_add_f64_e32 v[54:55], v[127:128], v[54:55]
	v_add_f64_e32 v[42:43], v[42:43], v[81:82]
	v_add_f64_e32 v[2:3], v[16:17], v[2:3]
	v_mul_f64_e32 v[169:170], s[24:25], v[36:37]
	v_mul_f64_e32 v[175:176], s[12:13], v[30:31]
	;; [unrolled: 1-line block ×7, first 2 shown]
	v_fma_f64 v[67:68], v[36:37], s[20:21], v[167:168]
	v_fma_f64 v[103:104], v[36:37], s[20:21], -v[167:168]
	v_fma_f64 v[117:118], v[38:39], s[28:29], v[183:184]
	v_fma_f64 v[133:134], v[36:37], s[30:31], v[185:186]
	v_add_f64_e32 v[135:136], v[153:154], v[135:136]
	v_fma_f64 v[153:154], v[38:39], s[34:35], v[56:57]
	v_mul_f64_e32 v[199:200], s[36:37], v[48:49]
	v_fma_f64 v[165:166], v[38:39], s[42:43], v[165:166]
	v_add_f64_e32 v[22:23], v[22:23], v[99:100]
	v_add_f64_e32 v[115:116], v[217:218], v[231:232]
	;; [unrolled: 1-line block ×3, first 2 shown]
	v_mul_f64_e32 v[197:198], s[18:19], v[34:35]
	v_add_f64_e32 v[137:138], v[157:158], v[137:138]
	v_fma_f64 v[157:158], v[36:37], s[16:17], -v[58:59]
	v_add_f64_e32 v[50:51], v[75:76], v[50:51]
	v_add_f64_e32 v[91:92], v[91:92], v[93:94]
	;; [unrolled: 1-line block ×4, first 2 shown]
	v_fma_f64 v[121:122], v[36:37], s[26:27], v[207:208]
	v_add_f64_e32 v[107:108], v[107:108], v[109:110]
	v_fma_f64 v[81:82], v[38:39], s[44:45], v[183:184]
	v_add_f64_e32 v[0:1], v[20:21], v[0:1]
	v_fma_f64 v[20:21], v[36:37], s[30:31], -v[185:186]
	v_add_f64_e32 v[69:70], v[131:132], v[69:70]
	v_fma_f64 v[131:132], v[36:37], s[26:27], -v[207:208]
	v_add_f64_e32 v[73:74], v[139:140], v[73:74]
	v_fma_f64 v[139:140], v[36:37], s[10:11], v[213:214]
	v_add_f64_e32 v[129:130], v[147:148], v[129:130]
	v_fma_f64 v[147:148], v[36:37], s[10:11], -v[213:214]
	v_add_f64_e32 v[46:47], v[46:47], v[54:55]
	v_fma_f64 v[36:37], v[36:37], s[16:17], v[58:59]
	v_add_f64_e32 v[18:19], v[18:19], v[42:43]
	v_add_f64_e64 v[42:43], v[85:86], -v[171:172]
	v_add_f64_e32 v[2:3], v[79:80], v[2:3]
	v_fma_f64 v[101:102], v[30:31], s[40:41], v[181:182]
	v_fma_f64 v[16:17], v[30:31], s[4:5], v[195:196]
	;; [unrolled: 1-line block ×6, first 2 shown]
	v_add_f64_e32 v[99:100], v[243:244], v[229:230]
	v_add_f64_e32 v[149:150], v[245:246], v[233:234]
	;; [unrolled: 1-line block ×3, first 2 shown]
	v_mul_f64_e32 v[187:188], s[18:19], v[48:49]
	v_mul_f64_e32 v[205:206], s[44:45], v[48:49]
	v_add_f64_e32 v[97:98], v[165:166], v[105:106]
	v_add_f64_e32 v[105:106], v[249:250], v[113:114]
	v_fma_f64 v[113:114], v[28:29], s[10:11], v[199:200]
	v_add_f64_e32 v[115:116], v[125:126], v[115:116]
	v_fma_f64 v[125:126], v[38:39], s[4:5], v[211:212]
	;; [unrolled: 2-line block ×3, first 2 shown]
	v_fma_f64 v[38:39], v[38:39], s[12:13], v[56:57]
	v_add_f64_e32 v[54:55], v[117:118], v[91:92]
	v_add_f64_e32 v[91:92], v[133:134], v[93:94]
	v_fma_f64 v[133:134], v[30:31], s[38:39], v[52:53]
	v_add_f64_e32 v[56:57], v[169:170], v[83:84]
	v_add_f64_e32 v[40:41], v[40:41], v[50:51]
	;; [unrolled: 1-line block ×4, first 2 shown]
	v_fma_f64 v[22:23], v[30:31], s[36:37], v[195:196]
	v_add_f64_e32 v[58:59], v[81:82], v[69:70]
	v_fma_f64 v[69:70], v[28:29], s[10:11], -v[199:200]
	v_add_f64_e32 v[20:21], v[20:21], v[73:74]
	v_fma_f64 v[103:104], v[30:31], s[44:45], v[201:202]
	v_mul_f64_e32 v[215:216], s[14:15], v[48:49]
	v_mul_f64_e32 v[48:49], s[38:39], v[48:49]
	v_add_f64_e32 v[46:47], v[153:154], v[46:47]
	v_add_f64_e32 v[135:136], v[151:152], v[135:136]
	;; [unrolled: 1-line block ×3, first 2 shown]
	v_add_f64_e64 v[36:37], v[89:90], -v[175:176]
	v_add_f64_e32 v[2:3], v[42:43], v[2:3]
	v_add_f64_e32 v[93:94], v[101:102], v[95:96]
	;; [unrolled: 1-line block ×4, first 2 shown]
	v_mul_f64_e32 v[173:174], s[16:17], v[28:29]
	v_mul_f64_e32 v[189:190], s[26:27], v[32:33]
	v_mul_f64_e32 v[191:192], s[38:39], v[34:35]
	v_add_f64_e32 v[99:100], v[241:242], v[99:100]
	v_add_f64_e32 v[149:150], v[219:220], v[149:150]
	;; [unrolled: 1-line block ×3, first 2 shown]
	v_mul_f64_e32 v[193:194], s[24:25], v[32:33]
	v_mul_f64_e32 v[73:74], s[20:21], v[32:33]
	v_add_f64_e32 v[95:96], v[145:146], v[97:98]
	v_add_f64_e32 v[97:98], v[247:248], v[105:106]
	v_mul_f64_e32 v[81:82], s[42:43], v[34:35]
	v_add_f64_e32 v[101:102], v[121:122], v[115:116]
	v_fma_f64 v[115:116], v[30:31], s[42:43], v[209:210]
	v_add_f64_e32 v[71:72], v[127:128], v[71:72]
	v_fma_f64 v[127:128], v[30:31], s[14:15], v[209:210]
	v_fma_f64 v[30:31], v[30:31], s[22:23], v[52:53]
	v_add_f64_e32 v[52:53], v[16:17], v[54:55]
	v_fma_f64 v[54:55], v[119:120], s[24:25], v[197:198]
	v_add_f64_e32 v[107:108], v[131:132], v[129:130]
	v_mul_f64_e32 v[121:122], s[12:13], v[34:35]
	v_mul_f64_e32 v[34:35], s[36:37], v[34:35]
	v_add_f64_e32 v[40:41], v[157:158], v[40:41]
	v_add_f64_e32 v[0:1], v[56:57], v[0:1]
	;; [unrolled: 1-line block ×3, first 2 shown]
	v_fma_f64 v[105:106], v[28:29], s[30:31], -v[205:206]
	v_fma_f64 v[77:78], v[28:29], s[24:25], -v[187:188]
	v_add_f64_e32 v[69:70], v[69:70], v[20:21]
	v_fma_f64 v[141:142], v[28:29], s[24:25], v[187:188]
	v_fma_f64 v[131:132], v[28:29], s[20:21], -v[215:216]
	v_mul_f64_e32 v[179:180], s[28:29], v[26:27]
	v_add_f64_e32 v[46:47], v[133:134], v[46:47]
	v_add_f64_e32 v[129:130], v[143:144], v[135:136]
	v_fma_f64 v[135:136], v[28:29], s[26:27], -v[48:49]
	v_add_f64_e32 v[58:59], v[22:23], v[58:59]
	v_add_f64_e32 v[133:134], v[36:37], v[2:3]
	scratch_load_b64 v[2:3], off, off offset:8 th:TH_LOAD_LU ; 8-byte Folded Reload
	v_add_f64_e32 v[137:138], v[147:148], v[137:138]
	v_add_f64_e32 v[67:68], v[67:68], v[161:162]
	;; [unrolled: 1-line block ×3, first 2 shown]
	v_fma_f64 v[83:84], v[119:120], s[24:25], -v[197:198]
	v_fma_f64 v[109:110], v[26:27], s[38:39], v[189:190]
	v_add_f64_e32 v[79:80], v[111:112], v[99:100]
	v_mul_f64_e32 v[111:112], s[16:17], v[32:33]
	v_add_f64_e32 v[117:118], v[125:126], v[149:150]
	v_mul_f64_e32 v[32:33], s[10:11], v[32:33]
	v_fma_f64 v[99:100], v[28:29], s[30:31], v[205:206]
	v_fma_f64 v[125:126], v[28:29], s[20:21], v[215:216]
	v_add_f64_e32 v[97:98], v[139:140], v[97:98]
	v_add_f64_e32 v[38:39], v[38:39], v[44:45]
	v_fma_f64 v[28:29], v[28:29], s[26:27], v[48:49]
	v_fma_f64 v[85:86], v[26:27], s[14:15], v[73:74]
	v_add_f64_e32 v[71:72], v[103:104], v[71:72]
	v_fma_f64 v[73:74], v[26:27], s[42:43], v[73:74]
	v_fma_f64 v[44:45], v[119:120], s[26:27], -v[191:192]
	v_fma_f64 v[159:160], v[26:27], s[22:23], v[189:190]
	v_fma_f64 v[163:164], v[119:120], s[26:27], v[191:192]
	v_fma_f64 v[113:114], v[119:120], s[16:17], -v[121:122]
	v_add_f64_e32 v[20:21], v[54:55], v[56:57]
	scratch_load_b64 v[56:57], off, off     ; 8-byte Folded Reload
	v_add_f64_e32 v[48:49], v[77:78], v[50:51]
	v_fma_f64 v[77:78], v[26:27], s[18:19], v[193:194]
	v_fma_f64 v[50:51], v[26:27], s[40:41], v[193:194]
	v_add_f64_e64 v[89:90], v[24:25], -v[179:180]
	v_add_f64_e32 v[40:41], v[135:136], v[40:41]
	v_add_f64_e32 v[67:68], v[141:142], v[67:68]
	;; [unrolled: 1-line block ×5, first 2 shown]
	v_fma_f64 v[79:80], v[119:120], s[20:21], v[81:82]
	v_add_f64_e32 v[103:104], v[115:116], v[117:118]
	v_fma_f64 v[115:116], v[26:27], s[36:37], v[32:33]
	v_fma_f64 v[117:118], v[119:120], s[10:11], -v[34:35]
	v_add_f64_e32 v[91:92], v[99:100], v[101:102]
	v_add_f64_e32 v[99:100], v[105:106], v[107:108]
	v_fma_f64 v[101:102], v[26:27], s[34:35], v[111:112]
	v_fma_f64 v[105:106], v[119:120], s[16:17], v[121:122]
	;; [unrolled: 1-line block ×3, first 2 shown]
	v_add_f64_e32 v[111:112], v[127:128], v[129:130]
	v_add_f64_e32 v[121:122], v[131:132], v[137:138]
	v_fma_f64 v[81:82], v[119:120], s[20:21], -v[81:82]
	v_add_f64_e32 v[97:98], v[125:126], v[97:98]
	v_fma_f64 v[125:126], v[26:27], s[4:5], v[32:33]
	v_add_f64_e32 v[127:128], v[30:31], v[38:39]
	v_fma_f64 v[129:130], v[119:120], s[10:11], v[34:35]
	v_add_f64_e32 v[131:132], v[28:29], v[18:19]
	v_add_f64_e32 v[30:31], v[73:74], v[71:72]
	;; [unrolled: 1-line block ×19, first 2 shown]
	s_wait_loadcnt 0x1
	v_add_f64_e32 v[87:88], v[2:3], v[177:178]
	v_add_f64_e32 v[2:3], v[159:160], v[93:94]
	v_mov_b32_e32 v177, v63
	v_mov_b32_e32 v63, v253
	v_dual_mov_b32 v253, v124 :: v_dual_mov_b32 v124, v66
	s_wait_loadcnt 0x0
	v_mul_i32_i24_e32 v56, 0xd0, v56
	s_delay_alu instid0(VALU_DEP_1)
	v_add3_u32 v56, 0, v56, v63
	v_add_f64_e32 v[52:53], v[87:88], v[135:136]
	ds_store_b128 v56, v[8:11]
	ds_store_b128 v56, v[12:15] offset:16
	ds_store_b128 v56, v[36:39] offset:32
	;; [unrolled: 1-line block ×12, first 2 shown]
.LBB0_14:
	s_or_b32 exec_lo, exec_lo, s1
	scratch_load_b64 v[0:1], off, off       ; 8-byte Folded Reload
	global_wb scope:SCOPE_SE
	s_wait_storecnt 0x0
	s_wait_loadcnt_dscnt 0x0
	s_barrier_signal -1
	s_barrier_wait -1
	global_inv scope:SCOPE_SE
	v_cmp_gt_u32_e64 s0, 26, v62
	v_lshlrev_b32_e32 v0, 4, v0
	s_delay_alu instid0(VALU_DEP_1)
	v_add3_u32 v68, 0, v0, v63
	ds_load_b128 v[20:23], v124
	ds_load_b128 v[0:3], v123 offset:1248
	ds_load_b128 v[40:43], v123 offset:3536
	;; [unrolled: 1-line block ×9, first 2 shown]
	ds_load_b128 v[24:27], v68
	ds_load_b128 v[44:47], v123 offset:7696
	s_and_saveexec_b32 s1, s0
	s_cbranch_execz .LBB0_16
; %bb.15:
	ds_load_b128 v[4:7], v123 offset:2496
	ds_load_b128 v[8:11], v123 offset:5408
	;; [unrolled: 1-line block ×3, first 2 shown]
.LBB0_16:
	s_wait_alu 0xfffe
	s_or_b32 exec_lo, exec_lo, s1
	scratch_load_b64 v[70:71], off, off     ; 8-byte Folded Reload
	v_and_b32_e32 v67, 0xff, v62
	v_add_nc_u16 v69, v62, 0x4e
	s_wait_loadcnt 0x0
	v_add_nc_u16 v71, v62, 0x75
	s_mov_b32 s4, 0xe8584caa
	s_mov_b32 s5, 0x3febb67a
	s_mov_b32 s11, 0xbfebb67a
	v_and_b32_e32 v72, 0xff, v69
	v_and_b32_e32 v73, 0xff, v71
	s_wait_alu 0xfffe
	s_mov_b32 s10, s4
	s_delay_alu instid0(VALU_DEP_2) | instskip(NEXT) | instid1(VALU_DEP_2)
	v_mul_lo_u16 v72, 0x4f, v72
	v_mul_lo_u16 v73, 0x4f, v73
	s_delay_alu instid0(VALU_DEP_2) | instskip(NEXT) | instid1(VALU_DEP_2)
	v_lshrrev_b16 v118, 10, v72
	v_lshrrev_b16 v121, 10, v73
	s_delay_alu instid0(VALU_DEP_2) | instskip(NEXT) | instid1(VALU_DEP_1)
	v_mul_lo_u16 v73, v118, 13
	v_sub_nc_u16 v69, v69, v73
	s_delay_alu instid0(VALU_DEP_1) | instskip(NEXT) | instid1(VALU_DEP_1)
	v_and_b32_e32 v126, 0xff, v69
	v_dual_mov_b32 v66, v70 :: v_dual_lshlrev_b32 v89, 5, v126
	v_mul_lo_u16 v67, 0x4f, v67
	s_delay_alu instid0(VALU_DEP_2) | instskip(NEXT) | instid1(VALU_DEP_2)
	v_and_b32_e32 v70, 0xff, v66
	v_lshrrev_b16 v67, 10, v67
	s_delay_alu instid0(VALU_DEP_2) | instskip(NEXT) | instid1(VALU_DEP_1)
	v_mul_lo_u16 v70, 0x4f, v70
	v_lshrrev_b16 v117, 10, v70
	s_delay_alu instid0(VALU_DEP_3) | instskip(SKIP_1) | instid1(VALU_DEP_3)
	v_mul_lo_u16 v70, v67, 13
	v_and_b32_e32 v67, 0xffff, v67
	v_mul_lo_u16 v72, v117, 13
	s_delay_alu instid0(VALU_DEP_3) | instskip(NEXT) | instid1(VALU_DEP_3)
	v_sub_nc_u16 v70, v62, v70
	v_mad_u32_u24 v67, 0x270, v67, 0
	s_delay_alu instid0(VALU_DEP_3) | instskip(NEXT) | instid1(VALU_DEP_3)
	v_sub_nc_u16 v72, v66, v72
	v_and_b32_e32 v122, 0xff, v70
	v_mul_lo_u16 v70, v121, 13
	s_delay_alu instid0(VALU_DEP_3) | instskip(NEXT) | instid1(VALU_DEP_3)
	v_and_b32_e32 v125, 0xff, v72
	v_lshlrev_b32_e32 v73, 5, v122
	s_delay_alu instid0(VALU_DEP_3)
	v_sub_nc_u16 v77, v71, v70
	s_clause 0x1
	global_load_b128 v[69:72], v73, s[8:9]
	global_load_b128 v[73:76], v73, s[8:9] offset:16
	v_lshlrev_b32_e32 v81, 5, v125
	v_and_b32_e32 v127, 0xff, v77
	s_clause 0x1
	global_load_b128 v[77:80], v81, s[8:9]
	global_load_b128 v[81:84], v81, s[8:9] offset:16
	v_lshlrev_b32_e32 v97, 5, v127
	s_clause 0x3
	global_load_b128 v[85:88], v89, s[8:9]
	global_load_b128 v[89:92], v89, s[8:9] offset:16
	global_load_b128 v[93:96], v97, s[8:9]
	global_load_b128 v[97:100], v97, s[8:9] offset:16
	global_wb scope:SCOPE_SE
	s_wait_loadcnt_dscnt 0x0
	s_barrier_signal -1
	s_barrier_wait -1
	global_inv scope:SCOPE_SE
	v_mul_f64_e32 v[101:102], v[54:55], v[71:72]
	v_mul_f64_e32 v[103:104], v[58:59], v[75:76]
	v_mul_f64_e32 v[71:72], v[52:53], v[71:72]
	v_mul_f64_e32 v[75:76], v[56:57], v[75:76]
	v_mul_f64_e32 v[105:106], v[42:43], v[79:80]
	v_mul_f64_e32 v[107:108], v[50:51], v[83:84]
	v_mul_f64_e32 v[79:80], v[40:41], v[79:80]
	v_mul_f64_e32 v[83:84], v[48:49], v[83:84]
	v_mul_f64_e32 v[109:110], v[30:31], v[87:88]
	v_mul_f64_e32 v[111:112], v[34:35], v[91:92]
	v_mul_f64_e32 v[87:88], v[28:29], v[87:88]
	v_mul_f64_e32 v[91:92], v[32:33], v[91:92]
	v_mul_f64_e32 v[113:114], v[38:39], v[95:96]
	v_mul_f64_e32 v[115:116], v[46:47], v[99:100]
	v_mul_f64_e32 v[95:96], v[36:37], v[95:96]
	v_mul_f64_e32 v[99:100], v[44:45], v[99:100]
	v_fma_f64 v[52:53], v[52:53], v[69:70], -v[101:102]
	v_fma_f64 v[56:57], v[56:57], v[73:74], -v[103:104]
	v_fma_f64 v[54:55], v[54:55], v[69:70], v[71:72]
	v_fma_f64 v[58:59], v[58:59], v[73:74], v[75:76]
	v_fma_f64 v[40:41], v[40:41], v[77:78], -v[105:106]
	v_fma_f64 v[48:49], v[48:49], v[81:82], -v[107:108]
	v_fma_f64 v[42:43], v[42:43], v[77:78], v[79:80]
	v_fma_f64 v[50:51], v[50:51], v[81:82], v[83:84]
	;; [unrolled: 4-line block ×4, first 2 shown]
	v_add_f64_e32 v[85:86], v[20:21], v[52:53]
	v_add_f64_e32 v[69:70], v[52:53], v[56:57]
	v_add_f64_e64 v[52:53], v[52:53], -v[56:57]
	v_add_f64_e32 v[71:72], v[54:55], v[58:59]
	v_add_f64_e64 v[87:88], v[54:55], -v[58:59]
	v_add_f64_e32 v[54:55], v[22:23], v[54:55]
	v_add_f64_e32 v[89:90], v[24:25], v[40:41]
	;; [unrolled: 1-line block ×9, first 2 shown]
	v_add_f64_e64 v[42:43], v[42:43], -v[50:51]
	v_add_f64_e32 v[81:82], v[36:37], v[44:45]
	v_add_f64_e64 v[101:102], v[40:41], -v[48:49]
	v_add_f64_e32 v[83:84], v[38:39], v[46:47]
	v_add_f64_e32 v[97:98], v[16:17], v[36:37]
	;; [unrolled: 1-line block ×3, first 2 shown]
	v_add_f64_e64 v[103:104], v[30:31], -v[34:35]
	v_add_f64_e64 v[105:106], v[28:29], -v[32:33]
	;; [unrolled: 1-line block ×4, first 2 shown]
	v_fma_f64 v[69:70], v[69:70], -0.5, v[20:21]
	v_fma_f64 v[71:72], v[71:72], -0.5, v[22:23]
	;; [unrolled: 1-line block ×4, first 2 shown]
	v_add_f64_e32 v[20:21], v[93:94], v[32:33]
	v_fma_f64 v[77:78], v[77:78], -0.5, v[0:1]
	v_add_f64_e32 v[0:1], v[85:86], v[56:57]
	v_fma_f64 v[79:80], v[79:80], -0.5, v[2:3]
	;; [unrolled: 2-line block ×4, first 2 shown]
	v_add_f64_e32 v[16:17], v[89:90], v[48:49]
	v_add_f64_e32 v[18:19], v[91:92], v[50:51]
	;; [unrolled: 1-line block ×4, first 2 shown]
	v_fma_f64 v[28:29], v[87:88], s[4:5], v[69:70]
	s_wait_alu 0xfffe
	v_fma_f64 v[32:33], v[87:88], s[10:11], v[69:70]
	v_fma_f64 v[30:31], v[52:53], s[10:11], v[71:72]
	;; [unrolled: 1-line block ×3, first 2 shown]
	v_and_b32_e32 v69, 0xffff, v117
	v_and_b32_e32 v70, 0xffff, v118
	v_fma_f64 v[36:37], v[42:43], s[4:5], v[73:74]
	v_fma_f64 v[40:41], v[42:43], s[10:11], v[73:74]
	;; [unrolled: 1-line block ×12, first 2 shown]
	v_mad_u32_u24 v69, 0x270, v69, 0
	v_and_b32_e32 v71, 0xffff, v121
	v_lshlrev_b32_e32 v72, 4, v122
	v_lshlrev_b32_e32 v73, 4, v125
	v_mad_u32_u24 v70, 0x270, v70, 0
	s_delay_alu instid0(VALU_DEP_4) | instskip(NEXT) | instid1(VALU_DEP_4)
	v_mad_u32_u24 v71, 0x270, v71, 0
	v_add3_u32 v67, v67, v72, v63
	s_delay_alu instid0(VALU_DEP_4) | instskip(SKIP_2) | instid1(VALU_DEP_2)
	v_add3_u32 v69, v69, v73, v63
	v_lshlrev_b32_e32 v72, 4, v126
	v_lshlrev_b32_e32 v73, 4, v127
	v_add3_u32 v70, v70, v72, v63
	s_delay_alu instid0(VALU_DEP_2)
	v_add3_u32 v71, v71, v73, v63
	ds_store_b128 v67, v[0:3]
	ds_store_b128 v67, v[28:31] offset:208
	ds_store_b128 v67, v[32:35] offset:416
	ds_store_b128 v69, v[16:19]
	ds_store_b128 v69, v[36:39] offset:208
	ds_store_b128 v69, v[40:43] offset:416
	;; [unrolled: 3-line block ×4, first 2 shown]
	s_and_saveexec_b32 s1, s0
	s_cbranch_execz .LBB0_18
; %bb.17:
	v_add_nc_u16 v0, v62, 0x9c
	s_delay_alu instid0(VALU_DEP_1) | instskip(NEXT) | instid1(VALU_DEP_1)
	v_and_b32_e32 v1, 0xff, v0
	v_mul_lo_u16 v1, 0x4f, v1
	s_delay_alu instid0(VALU_DEP_1) | instskip(NEXT) | instid1(VALU_DEP_1)
	v_lshrrev_b16 v24, 10, v1
	v_mul_lo_u16 v1, v24, 13
	s_delay_alu instid0(VALU_DEP_1) | instskip(NEXT) | instid1(VALU_DEP_1)
	v_sub_nc_u16 v0, v0, v1
	v_and_b32_e32 v25, 0xff, v0
	s_delay_alu instid0(VALU_DEP_1)
	v_lshlrev_b32_e32 v16, 5, v25
	s_clause 0x1
	global_load_b128 v[0:3], v16, s[8:9]
	global_load_b128 v[16:19], v16, s[8:9] offset:16
	s_wait_loadcnt 0x1
	v_mul_f64_e32 v[20:21], v[8:9], v[2:3]
	s_wait_loadcnt 0x0
	v_mul_f64_e32 v[22:23], v[12:13], v[18:19]
	v_mul_f64_e32 v[2:3], v[10:11], v[2:3]
	;; [unrolled: 1-line block ×3, first 2 shown]
	s_delay_alu instid0(VALU_DEP_4) | instskip(NEXT) | instid1(VALU_DEP_4)
	v_fma_f64 v[10:11], v[10:11], v[0:1], v[20:21]
	v_fma_f64 v[14:15], v[14:15], v[16:17], v[22:23]
	s_delay_alu instid0(VALU_DEP_4) | instskip(NEXT) | instid1(VALU_DEP_4)
	v_fma_f64 v[0:1], v[8:9], v[0:1], -v[2:3]
	v_fma_f64 v[8:9], v[12:13], v[16:17], -v[18:19]
	s_delay_alu instid0(VALU_DEP_4) | instskip(NEXT) | instid1(VALU_DEP_4)
	v_add_f64_e32 v[18:19], v[6:7], v[10:11]
	v_add_f64_e32 v[2:3], v[10:11], v[14:15]
	v_add_f64_e64 v[22:23], v[10:11], -v[14:15]
	s_delay_alu instid0(VALU_DEP_4)
	v_add_f64_e32 v[12:13], v[0:1], v[8:9]
	v_add_f64_e64 v[16:17], v[0:1], -v[8:9]
	v_add_f64_e32 v[0:1], v[4:5], v[0:1]
	v_fma_f64 v[20:21], v[2:3], -0.5, v[6:7]
	v_add_f64_e32 v[2:3], v[18:19], v[14:15]
	v_fma_f64 v[4:5], v[12:13], -0.5, v[4:5]
	v_and_b32_e32 v12, 0xffff, v24
	v_add_f64_e32 v[0:1], v[0:1], v[8:9]
	v_lshlrev_b32_e32 v13, 4, v25
	s_delay_alu instid0(VALU_DEP_3) | instskip(NEXT) | instid1(VALU_DEP_1)
	v_mad_u32_u24 v12, 0x270, v12, 0
	v_add3_u32 v12, v12, v13, v63
	v_fma_f64 v[10:11], v[16:17], s[10:11], v[20:21]
	v_fma_f64 v[6:7], v[16:17], s[4:5], v[20:21]
	;; [unrolled: 1-line block ×4, first 2 shown]
	ds_store_b128 v12, v[0:3]
	ds_store_b128 v12, v[8:11] offset:208
	ds_store_b128 v12, v[4:7] offset:416
.LBB0_18:
	s_wait_alu 0xfffe
	s_or_b32 exec_lo, exec_lo, s1
	v_mul_u32_u24_e32 v0, 6, v62
	global_wb scope:SCOPE_SE
	s_wait_dscnt 0x0
	s_barrier_signal -1
	s_barrier_wait -1
	global_inv scope:SCOPE_SE
	v_dual_mov_b32 v63, 0 :: v_dual_lshlrev_b32 v20, 4, v0
	s_mov_b32 s0, 0x37e14327
	s_mov_b32 s4, 0x36b3c0b5
	s_mov_b32 s10, 0xe976ee23
	s_clause 0x5
	global_load_b128 v[0:3], v20, s[8:9] offset:416
	global_load_b128 v[4:7], v20, s[8:9] offset:432
	;; [unrolled: 1-line block ×6, first 2 shown]
	ds_load_b128 v[24:27], v123 offset:1248
	ds_load_b128 v[28:31], v123 offset:2496
	;; [unrolled: 1-line block ×12, first 2 shown]
	s_mov_b32 s12, 0x429ad128
	s_mov_b32 s1, 0x3fe948f6
	;; [unrolled: 1-line block ×10, first 2 shown]
	s_wait_alu 0xfffe
	s_mov_b32 s18, s16
	s_wait_loadcnt_dscnt 0x50b
	v_mul_f64_e32 v[81:82], v[26:27], v[2:3]
	v_mul_f64_e32 v[83:84], v[24:25], v[2:3]
	s_wait_loadcnt_dscnt 0x40a
	v_mul_f64_e32 v[85:86], v[30:31], v[6:7]
	v_mul_f64_e32 v[87:88], v[28:29], v[6:7]
	;; [unrolled: 3-line block ×4, first 2 shown]
	s_wait_dscnt 0x7
	v_mul_f64_e32 v[97:98], v[42:43], v[2:3]
	v_mul_f64_e32 v[2:3], v[40:41], v[2:3]
	s_wait_dscnt 0x6
	v_mul_f64_e32 v[99:100], v[46:47], v[6:7]
	v_mul_f64_e32 v[6:7], v[44:45], v[6:7]
	;; [unrolled: 3-line block ×4, first 2 shown]
	s_wait_loadcnt_dscnt 0x102
	v_mul_f64_e32 v[105:106], v[71:72], v[18:19]
	v_mul_f64_e32 v[107:108], v[69:70], v[18:19]
	s_wait_loadcnt_dscnt 0x0
	v_mul_f64_e32 v[109:110], v[75:76], v[22:23]
	v_mul_f64_e32 v[111:112], v[73:74], v[22:23]
	v_fma_f64 v[24:25], v[24:25], v[0:1], -v[81:82]
	v_fma_f64 v[26:27], v[26:27], v[0:1], v[83:84]
	v_fma_f64 v[28:29], v[28:29], v[4:5], -v[85:86]
	v_fma_f64 v[30:31], v[30:31], v[4:5], v[87:88]
	;; [unrolled: 2-line block ×4, first 2 shown]
	v_mul_f64_e32 v[81:82], v[79:80], v[18:19]
	v_mul_f64_e32 v[18:19], v[77:78], v[18:19]
	;; [unrolled: 1-line block ×4, first 2 shown]
	v_fma_f64 v[40:41], v[40:41], v[0:1], -v[97:98]
	v_fma_f64 v[0:1], v[42:43], v[0:1], v[2:3]
	v_fma_f64 v[2:3], v[44:45], v[4:5], -v[99:100]
	v_fma_f64 v[4:5], v[46:47], v[4:5], v[6:7]
	;; [unrolled: 2-line block ×6, first 2 shown]
	v_add_f64_e32 v[48:49], v[24:25], v[32:33]
	v_add_f64_e32 v[50:51], v[26:27], v[34:35]
	;; [unrolled: 1-line block ×4, first 2 shown]
	v_fma_f64 v[69:70], v[77:78], v[16:17], -v[81:82]
	v_fma_f64 v[16:17], v[79:80], v[16:17], v[18:19]
	v_fma_f64 v[18:19], v[56:57], v[20:21], -v[83:84]
	v_fma_f64 v[20:21], v[58:59], v[20:21], v[22:23]
	v_add_f64_e64 v[28:29], v[28:29], -v[36:37]
	v_add_f64_e64 v[30:31], v[30:31], -v[38:39]
	;; [unrolled: 1-line block ×4, first 2 shown]
	v_add_f64_e32 v[22:23], v[40:41], v[6:7]
	v_add_f64_e32 v[56:57], v[0:1], v[8:9]
	;; [unrolled: 1-line block ×4, first 2 shown]
	v_add_f64_e64 v[10:11], v[2:3], -v[10:11]
	v_add_f64_e64 v[12:13], v[4:5], -v[12:13]
	v_add_f64_e32 v[73:74], v[14:15], v[44:45]
	v_add_f64_e32 v[75:76], v[42:43], v[46:47]
	v_add_f64_e64 v[14:15], v[44:45], -v[14:15]
	v_add_f64_e64 v[36:37], v[46:47], -v[42:43]
	;; [unrolled: 1-line block ×3, first 2 shown]
	v_add_f64_e32 v[32:33], v[52:53], v[48:49]
	v_add_f64_e32 v[34:35], v[54:55], v[50:51]
	;; [unrolled: 1-line block ×4, first 2 shown]
	v_add_f64_e64 v[18:19], v[18:19], -v[69:70]
	v_add_f64_e64 v[16:17], v[20:21], -v[16:17]
	;; [unrolled: 1-line block ×4, first 2 shown]
	ds_load_b128 v[0:3], v124
	ds_load_b128 v[4:7], v68
	v_add_f64_e64 v[85:86], v[28:29], -v[24:25]
	v_add_f64_e32 v[40:41], v[58:59], v[22:23]
	v_add_f64_e32 v[44:45], v[71:72], v[56:57]
	v_add_f64_e64 v[46:47], v[48:49], -v[73:74]
	v_add_f64_e64 v[69:70], v[50:51], -v[75:76]
	;; [unrolled: 1-line block ×9, first 2 shown]
	v_add_f64_e32 v[28:29], v[14:15], v[28:29]
	v_add_f64_e32 v[30:31], v[36:37], v[30:31]
	v_add_f64_e64 v[14:15], v[24:25], -v[14:15]
	v_add_f64_e64 v[36:37], v[26:27], -v[36:37]
	v_add_f64_e32 v[32:33], v[73:74], v[32:33]
	v_add_f64_e32 v[34:35], v[75:76], v[34:35]
	v_add_f64_e64 v[73:74], v[22:23], -v[38:39]
	v_add_f64_e64 v[75:76], v[56:57], -v[42:43]
	;; [unrolled: 1-line block ×5, first 2 shown]
	v_add_f64_e32 v[52:53], v[18:19], v[10:11]
	v_add_f64_e32 v[54:55], v[16:17], v[12:13]
	v_mul_f64_e32 v[103:104], s[12:13], v[87:88]
	v_add_f64_e32 v[40:41], v[38:39], v[40:41]
	v_add_f64_e32 v[44:45], v[42:43], v[44:45]
	v_add_f64_e64 v[42:43], v[42:43], -v[71:72]
	v_add_f64_e64 v[38:39], v[38:39], -v[58:59]
	v_mul_f64_e32 v[46:47], s[0:1], v[46:47]
	v_mul_f64_e32 v[69:70], s[0:1], v[69:70]
	;; [unrolled: 1-line block ×6, first 2 shown]
	v_add_f64_e64 v[18:19], v[20:21], -v[18:19]
	v_add_f64_e64 v[16:17], v[8:9], -v[16:17]
	v_mul_f64_e32 v[101:102], s[12:13], v[85:86]
	v_add_f64_e32 v[24:25], v[28:29], v[24:25]
	v_add_f64_e32 v[26:27], v[30:31], v[26:27]
	v_mul_f64_e32 v[107:108], s[12:13], v[95:96]
	s_wait_dscnt 0x1
	v_add_f64_e32 v[0:1], v[0:1], v[32:33]
	v_add_f64_e32 v[2:3], v[2:3], v[34:35]
	v_mul_f64_e32 v[73:74], s[0:1], v[73:74]
	v_mul_f64_e32 v[75:76], s[0:1], v[75:76]
	;; [unrolled: 1-line block ×3, first 2 shown]
	s_mov_b32 s0, 0x5476071b
	v_mul_f64_e32 v[91:92], s[10:11], v[91:92]
	s_mov_b32 s1, 0x3fe77f67
	s_mov_b32 s11, 0xbfe77f67
	s_wait_alu 0xfffe
	s_mov_b32 s10, s0
	s_wait_dscnt 0x0
	v_add_f64_e32 v[10:11], v[4:5], v[40:41]
	v_add_f64_e32 v[12:13], v[6:7], v[44:45]
	v_add_f64_e64 v[6:7], v[71:72], -v[56:57]
	v_mul_f64_e32 v[56:57], s[4:5], v[42:43]
	v_add_f64_e64 v[4:5], v[58:59], -v[22:23]
	v_mul_f64_e32 v[22:23], s[4:5], v[38:39]
	v_add_f64_e32 v[20:21], v[52:53], v[20:21]
	v_fma_f64 v[28:29], v[77:78], s[4:5], v[46:47]
	v_fma_f64 v[30:31], v[79:80], s[4:5], v[69:70]
	v_fma_f64 v[52:53], v[48:49], s[0:1], -v[97:98]
	v_fma_f64 v[58:59], v[14:15], s[16:17], v[81:82]
	v_fma_f64 v[71:72], v[36:37], s[16:17], v[83:84]
	v_fma_f64 v[77:78], v[85:86], s[12:13], -v[81:82]
	v_fma_f64 v[79:80], v[87:88], s[12:13], -v[83:84]
	;; [unrolled: 1-line block ×3, first 2 shown]
	v_add_f64_e32 v[8:9], v[54:55], v[8:9]
	v_fma_f64 v[54:55], v[50:51], s[0:1], -v[99:100]
	s_wait_alu 0xfffe
	v_fma_f64 v[46:47], v[48:49], s[10:11], -v[46:47]
	v_fma_f64 v[48:49], v[50:51], s[10:11], -v[69:70]
	v_mul_f64_e32 v[105:106], s[12:13], v[93:94]
	v_fma_f64 v[14:15], v[14:15], s[18:19], -v[101:102]
	v_fma_f64 v[32:33], v[32:33], s[14:15], v[0:1]
	v_fma_f64 v[34:35], v[34:35], s[14:15], v[2:3]
	;; [unrolled: 1-line block ×4, first 2 shown]
	v_fma_f64 v[81:82], v[93:94], s[12:13], -v[89:90]
	v_fma_f64 v[50:51], v[18:19], s[16:17], v[89:90]
	v_fma_f64 v[69:70], v[16:17], s[16:17], v[91:92]
	v_fma_f64 v[83:84], v[95:96], s[12:13], -v[91:92]
	v_fma_f64 v[16:17], v[16:17], s[18:19], -v[107:108]
	v_fma_f64 v[40:41], v[40:41], s[14:15], v[10:11]
	v_fma_f64 v[44:45], v[44:45], s[14:15], v[12:13]
	v_fma_f64 v[75:76], v[6:7], s[10:11], -v[75:76]
	v_fma_f64 v[6:7], v[6:7], s[0:1], -v[56:57]
	;; [unrolled: 1-line block ×4, first 2 shown]
	s_mov_b32 s0, 0x37c3f68c
	s_mov_b32 s1, 0x3fdc38aa
	s_wait_alu 0xfffe
	v_fma_f64 v[56:57], v[24:25], s[0:1], v[58:59]
	v_fma_f64 v[58:59], v[26:27], s[0:1], v[71:72]
	;; [unrolled: 1-line block ×5, first 2 shown]
	v_fma_f64 v[18:19], v[18:19], s[18:19], -v[105:106]
	v_fma_f64 v[79:80], v[24:25], s[0:1], v[14:15]
	v_add_f64_e32 v[26:27], v[52:53], v[32:33]
	v_add_f64_e32 v[87:88], v[30:31], v[34:35]
	;; [unrolled: 1-line block ×6, first 2 shown]
	v_fma_f64 v[52:53], v[20:21], s[0:1], v[81:82]
	v_fma_f64 v[89:90], v[20:21], s[0:1], v[50:51]
	;; [unrolled: 1-line block ×5, first 2 shown]
	v_add_f64_e32 v[83:84], v[38:39], v[40:41]
	v_add_f64_e32 v[91:92], v[42:43], v[44:45]
	;; [unrolled: 1-line block ×6, first 2 shown]
	v_fma_f64 v[81:82], v[20:21], s[0:1], v[18:19]
	v_add_f64_e64 v[22:23], v[26:27], -v[77:78]
	v_add_f64_e64 v[16:17], v[87:88], -v[56:57]
	v_add_f64_e32 v[18:19], v[36:37], v[30:31]
	v_add_f64_e64 v[20:21], v[46:47], -v[79:80]
	v_add_f64_e32 v[14:15], v[58:59], v[85:86]
	v_add_f64_e32 v[24:25], v[71:72], v[28:29]
	;; [unrolled: 1-line block ×3, first 2 shown]
	v_add_f64_e64 v[28:29], v[28:29], -v[71:72]
	v_add_f64_e64 v[30:31], v[30:31], -v[36:37]
	v_add_f64_e32 v[32:33], v[79:80], v[46:47]
	v_add_f64_e64 v[34:35], v[85:86], -v[58:59]
	v_add_f64_e32 v[36:37], v[56:57], v[87:88]
	v_add_f64_e32 v[38:39], v[69:70], v[83:84]
	v_add_f64_e64 v[40:41], v[91:92], -v[89:90]
	v_add_f64_e64 v[69:70], v[83:84], -v[69:70]
	v_add_f64_e32 v[48:49], v[52:53], v[6:7]
	v_add_f64_e64 v[52:53], v[6:7], -v[52:53]
	scratch_load_b64 v[6:7], off, off th:TH_LOAD_LU ; 8-byte Folded Reload
	v_add_f64_e32 v[42:43], v[8:9], v[54:55]
	v_add_f64_e64 v[46:47], v[4:5], -v[50:51]
	v_add_f64_e32 v[50:51], v[50:51], v[4:5]
	v_add_f64_e64 v[54:55], v[54:55], -v[8:9]
	v_add_f64_e32 v[71:72], v[89:90], v[91:92]
	s_wait_loadcnt 0x0
	v_mov_b32_e32 v7, v63
	v_lshlrev_b64_e32 v[4:5], 4, v[62:63]
	global_wb scope:SCOPE_SE
	s_barrier_signal -1
	s_barrier_wait -1
	global_inv scope:SCOPE_SE
	v_add_co_u32 v8, s0, s8, v4
	v_add_f64_e64 v[44:45], v[73:74], -v[81:82]
	v_add_f64_e32 v[56:57], v[81:82], v[73:74]
	s_wait_alu 0xf1ff
	v_add_co_ci_u32_e64 v9, s0, s9, v5, s0
	ds_store_b128 v123, v[0:3]
	ds_store_b128 v123, v[14:17] offset:624
	ds_store_b128 v123, v[18:21] offset:1248
	;; [unrolled: 1-line block ×13, first 2 shown]
	global_wb scope:SCOPE_SE
	s_wait_dscnt 0x0
	s_barrier_signal -1
	s_barrier_wait -1
	global_inv scope:SCOPE_SE
	v_mov_b32_e32 v63, v6
	v_lshlrev_b64_e32 v[6:7], 4, v[6:7]
	s_delay_alu instid0(VALU_DEP_1) | instskip(SKIP_1) | instid1(VALU_DEP_2)
	v_add_co_u32 v6, s0, s8, v6
	s_wait_alu 0xf1ff
	v_add_co_ci_u32_e64 v7, s0, s9, v7, s0
	s_clause 0x6
	global_load_b128 v[0:3], v[8:9], off offset:4160
	global_load_b128 v[10:13], v[6:7], off offset:4160
	;; [unrolled: 1-line block ×7, first 2 shown]
	ds_load_b128 v[34:37], v123 offset:4368
	ds_load_b128 v[38:41], v123 offset:4992
	;; [unrolled: 1-line block ×7, first 2 shown]
	v_cmp_ne_u32_e64 s0, 0, v62
	s_wait_loadcnt_dscnt 0x606
	v_mul_f64_e32 v[58:59], v[36:37], v[2:3]
	v_mul_f64_e32 v[2:3], v[34:35], v[2:3]
	s_wait_loadcnt_dscnt 0x505
	v_mul_f64_e32 v[73:74], v[40:41], v[12:13]
	v_mul_f64_e32 v[12:13], v[38:39], v[12:13]
	;; [unrolled: 3-line block ×7, first 2 shown]
	v_fma_f64 v[34:35], v[34:35], v[0:1], -v[58:59]
	v_fma_f64 v[36:37], v[36:37], v[0:1], v[2:3]
	v_fma_f64 v[38:39], v[38:39], v[10:11], -v[73:74]
	v_fma_f64 v[40:41], v[40:41], v[10:11], v[12:13]
	;; [unrolled: 2-line block ×7, first 2 shown]
	ds_load_b128 v[0:3], v124
	ds_load_b128 v[10:13], v68
	ds_load_b128 v[14:17], v123 offset:1248
	ds_load_b128 v[18:21], v123 offset:1872
	;; [unrolled: 1-line block ×5, first 2 shown]
	global_wb scope:SCOPE_SE
	s_wait_dscnt 0x0
	s_barrier_signal -1
	s_barrier_wait -1
	global_inv scope:SCOPE_SE
	v_add_f64_e64 v[34:35], v[0:1], -v[34:35]
	v_add_f64_e64 v[36:37], v[2:3], -v[36:37]
	;; [unrolled: 1-line block ×14, first 2 shown]
	v_lshl_add_u32 v58, v254, 4, v255
	v_fma_f64 v[0:1], v[0:1], 2.0, -v[34:35]
	v_fma_f64 v[2:3], v[2:3], 2.0, -v[36:37]
	;; [unrolled: 1-line block ×14, first 2 shown]
	ds_store_b128 v123, v[0:3]
	ds_store_b128 v123, v[34:37] offset:4368
	ds_store_b128 v68, v[10:13]
	ds_store_b128 v68, v[38:41] offset:4368
	ds_store_b128 v123, v[14:17] offset:1248
	;; [unrolled: 1-line block ×11, first 2 shown]
	global_wb scope:SCOPE_SE
	s_wait_dscnt 0x0
	s_barrier_signal -1
	s_barrier_wait -1
	global_inv scope:SCOPE_SE
	ds_load_b128 v[0:3], v124
	v_sub_nc_u32_e32 v14, v177, v253
                                        ; implicit-def: $vgpr12_vgpr13
                                        ; implicit-def: $vgpr10_vgpr11
	s_and_saveexec_b32 s1, s0
	s_wait_alu 0xfffe
	s_xor_b32 s0, exec_lo, s1
	s_cbranch_execz .LBB0_20
; %bb.19:
	global_load_b128 v[8:11], v[8:9], off offset:8528
	ds_load_b128 v[15:18], v14 offset:8736
	s_wait_dscnt 0x0
	v_add_f64_e64 v[12:13], v[0:1], -v[15:16]
	v_add_f64_e32 v[19:20], v[2:3], v[17:18]
	v_add_f64_e64 v[2:3], v[2:3], -v[17:18]
	v_add_f64_e32 v[0:1], v[0:1], v[15:16]
	s_delay_alu instid0(VALU_DEP_4) | instskip(NEXT) | instid1(VALU_DEP_4)
	v_mul_f64_e32 v[12:13], 0.5, v[12:13]
	v_mul_f64_e32 v[17:18], 0.5, v[19:20]
	s_delay_alu instid0(VALU_DEP_4) | instskip(SKIP_1) | instid1(VALU_DEP_3)
	v_mul_f64_e32 v[2:3], 0.5, v[2:3]
	s_wait_loadcnt 0x0
	v_mul_f64_e32 v[15:16], v[12:13], v[10:11]
	s_delay_alu instid0(VALU_DEP_2) | instskip(SKIP_1) | instid1(VALU_DEP_3)
	v_fma_f64 v[19:20], v[17:18], v[10:11], v[2:3]
	v_fma_f64 v[2:3], v[17:18], v[10:11], -v[2:3]
	v_fma_f64 v[10:11], v[0:1], 0.5, v[15:16]
	v_fma_f64 v[0:1], v[0:1], 0.5, -v[15:16]
	s_delay_alu instid0(VALU_DEP_4) | instskip(NEXT) | instid1(VALU_DEP_4)
	v_fma_f64 v[15:16], -v[8:9], v[12:13], v[19:20]
	v_fma_f64 v[2:3], -v[8:9], v[12:13], v[2:3]
	ds_store_b64 v124, v[15:16] offset:8
	ds_store_b64 v14, v[2:3] offset:8744
	v_fma_f64 v[10:11], v[17:18], v[8:9], v[10:11]
	v_fma_f64 v[12:13], -v[17:18], v[8:9], v[0:1]
                                        ; implicit-def: $vgpr0_vgpr1
.LBB0_20:
	s_wait_alu 0xfffe
	s_and_not1_saveexec_b32 s0, s0
	s_cbranch_execz .LBB0_22
; %bb.21:
	s_wait_dscnt 0x0
	v_add_f64_e32 v[10:11], v[0:1], v[2:3]
	v_add_f64_e64 v[12:13], v[0:1], -v[2:3]
	s_mov_b32 s4, 0
	s_wait_alu 0xfffe
	s_mov_b32 s5, s4
	s_wait_alu 0xfffe
	v_dual_mov_b32 v0, s4 :: v_dual_mov_b32 v1, s5
	ds_store_b64 v124, v[0:1] offset:8
	ds_store_b64 v14, v[0:1] offset:8744
	ds_load_b64 v[0:1], v177 offset:4376
	s_wait_dscnt 0x0
	v_xor_b32_e32 v1, 0x80000000, v1
	ds_store_b64 v177, v[0:1] offset:4376
.LBB0_22:
	s_wait_alu 0xfffe
	s_or_b32 exec_lo, exec_lo, s0
	s_wait_dscnt 0x0
	global_load_b128 v[0:3], v[6:7], off offset:8528
	s_add_nc_u64 s[0:1], s[8:9], 0x2150
	v_lshl_add_u32 v23, v63, 4, v177
	s_wait_alu 0xfffe
	v_add_co_u32 v19, s0, s0, v4
	s_wait_alu 0xf1ff
	v_add_co_ci_u32_e64 v20, s0, s1, v5, s0
	global_load_b128 v[4:7], v[19:20], off offset:1248
	ds_store_b64 v124, v[10:11]
	ds_store_b64 v14, v[12:13] offset:8736
	ds_load_b128 v[8:11], v23
	ds_load_b128 v[15:18], v14 offset:8112
	s_wait_dscnt 0x0
	v_add_f64_e64 v[12:13], v[8:9], -v[15:16]
	v_add_f64_e32 v[21:22], v[10:11], v[17:18]
	v_add_f64_e64 v[10:11], v[10:11], -v[17:18]
	v_add_f64_e32 v[8:9], v[8:9], v[15:16]
	s_delay_alu instid0(VALU_DEP_4) | instskip(NEXT) | instid1(VALU_DEP_4)
	v_mul_f64_e32 v[12:13], 0.5, v[12:13]
	v_mul_f64_e32 v[17:18], 0.5, v[21:22]
	s_delay_alu instid0(VALU_DEP_4) | instskip(SKIP_1) | instid1(VALU_DEP_3)
	v_mul_f64_e32 v[10:11], 0.5, v[10:11]
	s_wait_loadcnt 0x1
	v_mul_f64_e32 v[15:16], v[12:13], v[2:3]
	s_delay_alu instid0(VALU_DEP_2) | instskip(SKIP_1) | instid1(VALU_DEP_3)
	v_fma_f64 v[21:22], v[17:18], v[2:3], v[10:11]
	v_fma_f64 v[2:3], v[17:18], v[2:3], -v[10:11]
	v_fma_f64 v[10:11], v[8:9], 0.5, v[15:16]
	v_fma_f64 v[8:9], v[8:9], 0.5, -v[15:16]
	s_delay_alu instid0(VALU_DEP_4) | instskip(NEXT) | instid1(VALU_DEP_4)
	v_fma_f64 v[15:16], -v[0:1], v[12:13], v[21:22]
	v_fma_f64 v[2:3], -v[0:1], v[12:13], v[2:3]
	s_delay_alu instid0(VALU_DEP_4) | instskip(NEXT) | instid1(VALU_DEP_4)
	v_fma_f64 v[12:13], v[17:18], v[0:1], v[10:11]
	v_fma_f64 v[0:1], -v[17:18], v[0:1], v[8:9]
	global_load_b128 v[8:11], v[19:20], off offset:1872
	ds_store_2addr_b64 v23, v[12:13], v[15:16] offset1:1
	ds_store_b128 v14, v[0:3] offset:8112
	ds_load_b128 v[0:3], v124 offset:1248
	ds_load_b128 v[15:18], v14 offset:7488
	s_wait_dscnt 0x0
	v_add_f64_e64 v[12:13], v[0:1], -v[15:16]
	v_add_f64_e32 v[21:22], v[2:3], v[17:18]
	v_add_f64_e64 v[2:3], v[2:3], -v[17:18]
	v_add_f64_e32 v[0:1], v[0:1], v[15:16]
	s_delay_alu instid0(VALU_DEP_4) | instskip(NEXT) | instid1(VALU_DEP_4)
	v_mul_f64_e32 v[12:13], 0.5, v[12:13]
	v_mul_f64_e32 v[17:18], 0.5, v[21:22]
	s_delay_alu instid0(VALU_DEP_4) | instskip(SKIP_1) | instid1(VALU_DEP_3)
	v_mul_f64_e32 v[2:3], 0.5, v[2:3]
	s_wait_loadcnt 0x1
	v_mul_f64_e32 v[15:16], v[12:13], v[6:7]
	s_delay_alu instid0(VALU_DEP_2) | instskip(SKIP_1) | instid1(VALU_DEP_3)
	v_fma_f64 v[21:22], v[17:18], v[6:7], v[2:3]
	v_fma_f64 v[2:3], v[17:18], v[6:7], -v[2:3]
	v_fma_f64 v[6:7], v[0:1], 0.5, v[15:16]
	v_fma_f64 v[0:1], v[0:1], 0.5, -v[15:16]
	s_delay_alu instid0(VALU_DEP_4) | instskip(NEXT) | instid1(VALU_DEP_4)
	v_fma_f64 v[15:16], -v[4:5], v[12:13], v[21:22]
	v_fma_f64 v[2:3], -v[4:5], v[12:13], v[2:3]
	s_delay_alu instid0(VALU_DEP_4) | instskip(NEXT) | instid1(VALU_DEP_4)
	v_fma_f64 v[12:13], v[17:18], v[4:5], v[6:7]
	v_fma_f64 v[0:1], -v[17:18], v[4:5], v[0:1]
	global_load_b128 v[4:7], v[19:20], off offset:2496
	ds_store_2addr_b64 v124, v[12:13], v[15:16] offset0:156 offset1:157
	ds_store_b128 v14, v[0:3] offset:7488
	ds_load_b128 v[0:3], v124 offset:1872
	ds_load_b128 v[15:18], v14 offset:6864
	s_wait_dscnt 0x0
	v_add_f64_e64 v[12:13], v[0:1], -v[15:16]
	v_add_f64_e32 v[21:22], v[2:3], v[17:18]
	v_add_f64_e64 v[2:3], v[2:3], -v[17:18]
	v_add_f64_e32 v[0:1], v[0:1], v[15:16]
	s_delay_alu instid0(VALU_DEP_4) | instskip(NEXT) | instid1(VALU_DEP_4)
	v_mul_f64_e32 v[12:13], 0.5, v[12:13]
	v_mul_f64_e32 v[17:18], 0.5, v[21:22]
	s_delay_alu instid0(VALU_DEP_4) | instskip(SKIP_1) | instid1(VALU_DEP_3)
	v_mul_f64_e32 v[2:3], 0.5, v[2:3]
	s_wait_loadcnt 0x1
	v_mul_f64_e32 v[15:16], v[12:13], v[10:11]
	s_delay_alu instid0(VALU_DEP_2) | instskip(SKIP_1) | instid1(VALU_DEP_3)
	v_fma_f64 v[21:22], v[17:18], v[10:11], v[2:3]
	v_fma_f64 v[2:3], v[17:18], v[10:11], -v[2:3]
	v_fma_f64 v[10:11], v[0:1], 0.5, v[15:16]
	v_fma_f64 v[0:1], v[0:1], 0.5, -v[15:16]
	s_delay_alu instid0(VALU_DEP_4) | instskip(NEXT) | instid1(VALU_DEP_4)
	v_fma_f64 v[15:16], -v[8:9], v[12:13], v[21:22]
	v_fma_f64 v[2:3], -v[8:9], v[12:13], v[2:3]
	s_delay_alu instid0(VALU_DEP_4) | instskip(NEXT) | instid1(VALU_DEP_4)
	v_fma_f64 v[12:13], v[17:18], v[8:9], v[10:11]
	v_fma_f64 v[0:1], -v[17:18], v[8:9], v[0:1]
	global_load_b128 v[8:11], v[19:20], off offset:3120
	ds_store_2addr_b64 v124, v[12:13], v[15:16] offset0:234 offset1:235
	ds_store_b128 v14, v[0:3] offset:6864
	ds_load_b128 v[0:3], v124 offset:2496
	ds_load_b128 v[15:18], v14 offset:6240
	s_wait_dscnt 0x0
	v_add_f64_e64 v[12:13], v[0:1], -v[15:16]
	v_add_f64_e32 v[21:22], v[2:3], v[17:18]
	v_add_f64_e64 v[2:3], v[2:3], -v[17:18]
	v_add_f64_e32 v[0:1], v[0:1], v[15:16]
	s_delay_alu instid0(VALU_DEP_4) | instskip(NEXT) | instid1(VALU_DEP_4)
	v_mul_f64_e32 v[12:13], 0.5, v[12:13]
	v_mul_f64_e32 v[17:18], 0.5, v[21:22]
	s_delay_alu instid0(VALU_DEP_4) | instskip(SKIP_1) | instid1(VALU_DEP_3)
	v_mul_f64_e32 v[2:3], 0.5, v[2:3]
	s_wait_loadcnt 0x1
	v_mul_f64_e32 v[15:16], v[12:13], v[6:7]
	s_delay_alu instid0(VALU_DEP_2) | instskip(SKIP_1) | instid1(VALU_DEP_3)
	v_fma_f64 v[21:22], v[17:18], v[6:7], v[2:3]
	v_fma_f64 v[2:3], v[17:18], v[6:7], -v[2:3]
	v_fma_f64 v[6:7], v[0:1], 0.5, v[15:16]
	v_fma_f64 v[0:1], v[0:1], 0.5, -v[15:16]
	s_delay_alu instid0(VALU_DEP_4) | instskip(NEXT) | instid1(VALU_DEP_4)
	v_fma_f64 v[15:16], -v[4:5], v[12:13], v[21:22]
	v_fma_f64 v[2:3], -v[4:5], v[12:13], v[2:3]
	v_add_nc_u32_e32 v21, 0x800, v124
	v_fma_f64 v[12:13], v[17:18], v[4:5], v[6:7]
	v_fma_f64 v[0:1], -v[17:18], v[4:5], v[0:1]
	global_load_b128 v[4:7], v[19:20], off offset:3744
	ds_store_2addr_b64 v21, v[12:13], v[15:16] offset0:56 offset1:57
	ds_store_b128 v14, v[0:3] offset:6240
	ds_load_b128 v[0:3], v124 offset:3120
	ds_load_b128 v[15:18], v14 offset:5616
	s_wait_dscnt 0x0
	v_add_f64_e64 v[12:13], v[0:1], -v[15:16]
	v_add_f64_e32 v[19:20], v[2:3], v[17:18]
	v_add_f64_e64 v[2:3], v[2:3], -v[17:18]
	v_add_f64_e32 v[0:1], v[0:1], v[15:16]
	s_delay_alu instid0(VALU_DEP_4) | instskip(NEXT) | instid1(VALU_DEP_4)
	v_mul_f64_e32 v[12:13], 0.5, v[12:13]
	v_mul_f64_e32 v[17:18], 0.5, v[19:20]
	s_delay_alu instid0(VALU_DEP_4) | instskip(SKIP_1) | instid1(VALU_DEP_3)
	v_mul_f64_e32 v[2:3], 0.5, v[2:3]
	s_wait_loadcnt 0x1
	v_mul_f64_e32 v[15:16], v[12:13], v[10:11]
	s_delay_alu instid0(VALU_DEP_2) | instskip(SKIP_1) | instid1(VALU_DEP_3)
	v_fma_f64 v[19:20], v[17:18], v[10:11], v[2:3]
	v_fma_f64 v[2:3], v[17:18], v[10:11], -v[2:3]
	v_fma_f64 v[10:11], v[0:1], 0.5, v[15:16]
	v_fma_f64 v[0:1], v[0:1], 0.5, -v[15:16]
	s_delay_alu instid0(VALU_DEP_4) | instskip(NEXT) | instid1(VALU_DEP_4)
	v_fma_f64 v[15:16], -v[8:9], v[12:13], v[19:20]
	v_fma_f64 v[2:3], -v[8:9], v[12:13], v[2:3]
	s_delay_alu instid0(VALU_DEP_4) | instskip(NEXT) | instid1(VALU_DEP_4)
	v_fma_f64 v[10:11], v[17:18], v[8:9], v[10:11]
	v_fma_f64 v[0:1], -v[17:18], v[8:9], v[0:1]
	ds_store_2addr_b64 v21, v[10:11], v[15:16] offset0:134 offset1:135
	ds_store_b128 v14, v[0:3] offset:5616
	ds_load_b128 v[0:3], v124 offset:3744
	ds_load_b128 v[8:11], v14 offset:4992
	s_wait_dscnt 0x0
	v_add_f64_e64 v[12:13], v[0:1], -v[8:9]
	v_add_f64_e32 v[15:16], v[2:3], v[10:11]
	v_add_f64_e64 v[2:3], v[2:3], -v[10:11]
	v_add_f64_e32 v[0:1], v[0:1], v[8:9]
	s_delay_alu instid0(VALU_DEP_4) | instskip(NEXT) | instid1(VALU_DEP_4)
	v_mul_f64_e32 v[10:11], 0.5, v[12:13]
	v_mul_f64_e32 v[12:13], 0.5, v[15:16]
	s_delay_alu instid0(VALU_DEP_4) | instskip(SKIP_1) | instid1(VALU_DEP_3)
	v_mul_f64_e32 v[2:3], 0.5, v[2:3]
	s_wait_loadcnt 0x0
	v_mul_f64_e32 v[8:9], v[10:11], v[6:7]
	s_delay_alu instid0(VALU_DEP_2) | instskip(SKIP_1) | instid1(VALU_DEP_3)
	v_fma_f64 v[15:16], v[12:13], v[6:7], v[2:3]
	v_fma_f64 v[2:3], v[12:13], v[6:7], -v[2:3]
	v_fma_f64 v[6:7], v[0:1], 0.5, v[8:9]
	v_fma_f64 v[0:1], v[0:1], 0.5, -v[8:9]
	s_delay_alu instid0(VALU_DEP_4) | instskip(NEXT) | instid1(VALU_DEP_4)
	v_fma_f64 v[8:9], -v[4:5], v[10:11], v[15:16]
	v_fma_f64 v[2:3], -v[4:5], v[10:11], v[2:3]
	s_delay_alu instid0(VALU_DEP_4) | instskip(NEXT) | instid1(VALU_DEP_4)
	v_fma_f64 v[6:7], v[12:13], v[4:5], v[6:7]
	v_fma_f64 v[0:1], -v[12:13], v[4:5], v[0:1]
	ds_store_2addr_b64 v21, v[6:7], v[8:9] offset0:212 offset1:213
	ds_store_b128 v14, v[0:3] offset:4992
	global_wb scope:SCOPE_SE
	s_wait_dscnt 0x0
	s_barrier_signal -1
	s_barrier_wait -1
	global_inv scope:SCOPE_SE
	s_and_saveexec_b32 s0, vcc_lo
	s_cbranch_execz .LBB0_25
; %bb.23:
	v_mul_lo_u32 v2, s3, v64
	v_mul_lo_u32 v3, s2, v65
	v_mad_co_u64_u32 v[0:1], null, s2, v64, 0
	v_mov_b32_e32 v63, 0
	v_lshlrev_b64_e32 v[11:12], 4, v[60:61]
	v_add_nc_u32_e32 v13, 39, v62
	v_add_nc_u32_e32 v25, 0xc3, v62
	s_delay_alu instid0(VALU_DEP_4)
	v_dual_mov_b32 v28, v63 :: v_dual_add_nc_u32 v27, 0xea, v62
	v_add3_u32 v1, v1, v3, v2
	v_lshl_add_u32 v2, v62, 4, v177
	v_mov_b32_e32 v14, v63
	ds_load_b128 v[3:6], v2
	ds_load_b128 v[7:10], v2 offset:624
	v_lshlrev_b64_e32 v[0:1], 4, v[0:1]
	v_lshlrev_b64_e32 v[15:16], 4, v[62:63]
	v_mov_b32_e32 v26, v63
	s_delay_alu instid0(VALU_DEP_3) | instskip(SKIP_1) | instid1(VALU_DEP_4)
	v_add_co_u32 v0, vcc_lo, s6, v0
	s_wait_alu 0xfffd
	v_add_co_ci_u32_e32 v1, vcc_lo, s7, v1, vcc_lo
	s_delay_alu instid0(VALU_DEP_3) | instskip(NEXT) | instid1(VALU_DEP_3)
	v_lshlrev_b64_e32 v[25:26], 4, v[25:26]
	v_add_co_u32 v0, vcc_lo, v0, v11
	s_wait_alu 0xfffd
	s_delay_alu instid0(VALU_DEP_3) | instskip(SKIP_1) | instid1(VALU_DEP_3)
	v_add_co_ci_u32_e32 v1, vcc_lo, v1, v12, vcc_lo
	v_lshlrev_b64_e32 v[11:12], 4, v[13:14]
	v_add_co_u32 v13, vcc_lo, v0, v15
	s_wait_alu 0xfffd
	s_delay_alu instid0(VALU_DEP_3) | instskip(SKIP_1) | instid1(VALU_DEP_4)
	v_add_co_ci_u32_e32 v14, vcc_lo, v1, v16, vcc_lo
	v_dual_mov_b32 v16, v63 :: v_dual_add_nc_u32 v15, 0x4e, v62
	v_add_co_u32 v11, vcc_lo, v0, v11
	s_wait_alu 0xfffd
	v_add_co_ci_u32_e32 v12, vcc_lo, v1, v12, vcc_lo
	s_wait_dscnt 0x1
	global_store_b128 v[13:14], v[3:6], off
	s_wait_dscnt 0x0
	global_store_b128 v[11:12], v[7:10], off
	v_lshlrev_b64_e32 v[3:4], 4, v[15:16]
	v_dual_mov_b32 v12, v63 :: v_dual_add_nc_u32 v11, 0x75, v62
	v_dual_mov_b32 v14, v63 :: v_dual_add_nc_u32 v13, 0x9c, v62
	s_delay_alu instid0(VALU_DEP_3) | instskip(SKIP_1) | instid1(VALU_DEP_4)
	v_add_co_u32 v19, vcc_lo, v0, v3
	s_wait_alu 0xfffd
	v_add_co_ci_u32_e32 v20, vcc_lo, v1, v4, vcc_lo
	ds_load_b128 v[3:6], v2 offset:1248
	ds_load_b128 v[7:10], v2 offset:1872
	v_lshlrev_b64_e32 v[21:22], 4, v[11:12]
	v_lshlrev_b64_e32 v[23:24], 4, v[13:14]
	ds_load_b128 v[11:14], v2 offset:2496
	ds_load_b128 v[15:18], v2 offset:3120
	v_add_co_u32 v21, vcc_lo, v0, v21
	s_wait_alu 0xfffd
	v_add_co_ci_u32_e32 v22, vcc_lo, v1, v22, vcc_lo
	v_add_co_u32 v23, vcc_lo, v0, v23
	s_wait_alu 0xfffd
	v_add_co_ci_u32_e32 v24, vcc_lo, v1, v24, vcc_lo
	;; [unrolled: 3-line block ×3, first 2 shown]
	s_wait_dscnt 0x3
	global_store_b128 v[19:20], v[3:6], off
	s_wait_dscnt 0x2
	global_store_b128 v[21:22], v[7:10], off
	;; [unrolled: 2-line block ×4, first 2 shown]
	v_lshlrev_b64_e32 v[3:4], 4, v[27:28]
	v_dual_mov_b32 v12, v63 :: v_dual_add_nc_u32 v11, 0x111, v62
	v_dual_mov_b32 v14, v63 :: v_dual_add_nc_u32 v13, 0x138, v62
	;; [unrolled: 1-line block ×3, first 2 shown]
	s_delay_alu instid0(VALU_DEP_4)
	v_add_co_u32 v19, vcc_lo, v0, v3
	s_wait_alu 0xfffd
	v_add_co_ci_u32_e32 v20, vcc_lo, v1, v4, vcc_lo
	ds_load_b128 v[3:6], v2 offset:3744
	ds_load_b128 v[7:10], v2 offset:4368
	v_lshlrev_b64_e32 v[21:22], 4, v[11:12]
	v_lshlrev_b64_e32 v[23:24], 4, v[13:14]
	ds_load_b128 v[11:14], v2 offset:4992
	ds_load_b128 v[15:18], v2 offset:5616
	v_lshlrev_b64_e32 v[25:26], 4, v[25:26]
	v_add_nc_u32_e32 v27, 0x186, v62
	v_add_co_u32 v21, vcc_lo, v0, v21
	s_wait_alu 0xfffd
	v_add_co_ci_u32_e32 v22, vcc_lo, v1, v22, vcc_lo
	v_add_co_u32 v23, vcc_lo, v0, v23
	s_wait_alu 0xfffd
	v_add_co_ci_u32_e32 v24, vcc_lo, v1, v24, vcc_lo
	;; [unrolled: 3-line block ×3, first 2 shown]
	s_wait_dscnt 0x3
	global_store_b128 v[19:20], v[3:6], off
	s_wait_dscnt 0x2
	global_store_b128 v[21:22], v[7:10], off
	;; [unrolled: 2-line block ×4, first 2 shown]
	v_mov_b32_e32 v12, v63
	v_lshlrev_b64_e32 v[3:4], 4, v[27:28]
	v_dual_mov_b32 v14, v63 :: v_dual_add_nc_u32 v11, 0x1ad, v62
	v_dual_mov_b32 v26, v63 :: v_dual_add_nc_u32 v13, 0x1d4, v62
	v_add_nc_u32_e32 v25, 0x1fb, v62
	s_delay_alu instid0(VALU_DEP_4)
	v_add_co_u32 v19, vcc_lo, v0, v3
	s_wait_alu 0xfffd
	v_add_co_ci_u32_e32 v20, vcc_lo, v1, v4, vcc_lo
	ds_load_b128 v[3:6], v2 offset:6240
	ds_load_b128 v[7:10], v2 offset:6864
	v_lshlrev_b64_e32 v[21:22], 4, v[11:12]
	v_lshlrev_b64_e32 v[23:24], 4, v[13:14]
	ds_load_b128 v[11:14], v2 offset:7488
	ds_load_b128 v[15:18], v2 offset:8112
	v_lshlrev_b64_e32 v[25:26], 4, v[25:26]
	v_add_co_u32 v21, vcc_lo, v0, v21
	s_wait_alu 0xfffd
	v_add_co_ci_u32_e32 v22, vcc_lo, v1, v22, vcc_lo
	v_add_co_u32 v23, vcc_lo, v0, v23
	s_wait_alu 0xfffd
	v_add_co_ci_u32_e32 v24, vcc_lo, v1, v24, vcc_lo
	;; [unrolled: 3-line block ×3, first 2 shown]
	v_cmp_eq_u32_e32 vcc_lo, 38, v62
	s_wait_dscnt 0x3
	global_store_b128 v[19:20], v[3:6], off
	s_wait_dscnt 0x2
	global_store_b128 v[21:22], v[7:10], off
	;; [unrolled: 2-line block ×4, first 2 shown]
	s_and_b32 exec_lo, exec_lo, vcc_lo
	s_cbranch_execz .LBB0_25
; %bb.24:
	ds_load_b128 v[2:5], v2 offset:8128
	s_wait_dscnt 0x0
	global_store_b128 v[0:1], v[2:5], off offset:8736
.LBB0_25:
	s_nop 0
	s_sendmsg sendmsg(MSG_DEALLOC_VGPRS)
	s_endpgm
	.section	.rodata,"a",@progbits
	.p2align	6, 0x0
	.amdhsa_kernel fft_rtc_fwd_len546_factors_13_3_7_2_wgs_117_tpt_39_halfLds_dp_op_CI_CI_unitstride_sbrr_R2C_dirReg
		.amdhsa_group_segment_fixed_size 0
		.amdhsa_private_segment_fixed_size 20
		.amdhsa_kernarg_size 104
		.amdhsa_user_sgpr_count 2
		.amdhsa_user_sgpr_dispatch_ptr 0
		.amdhsa_user_sgpr_queue_ptr 0
		.amdhsa_user_sgpr_kernarg_segment_ptr 1
		.amdhsa_user_sgpr_dispatch_id 0
		.amdhsa_user_sgpr_private_segment_size 0
		.amdhsa_wavefront_size32 1
		.amdhsa_uses_dynamic_stack 0
		.amdhsa_enable_private_segment 1
		.amdhsa_system_sgpr_workgroup_id_x 1
		.amdhsa_system_sgpr_workgroup_id_y 0
		.amdhsa_system_sgpr_workgroup_id_z 0
		.amdhsa_system_sgpr_workgroup_info 0
		.amdhsa_system_vgpr_workitem_id 0
		.amdhsa_next_free_vgpr 256
		.amdhsa_next_free_sgpr 46
		.amdhsa_reserve_vcc 1
		.amdhsa_float_round_mode_32 0
		.amdhsa_float_round_mode_16_64 0
		.amdhsa_float_denorm_mode_32 3
		.amdhsa_float_denorm_mode_16_64 3
		.amdhsa_fp16_overflow 0
		.amdhsa_workgroup_processor_mode 1
		.amdhsa_memory_ordered 1
		.amdhsa_forward_progress 0
		.amdhsa_round_robin_scheduling 0
		.amdhsa_exception_fp_ieee_invalid_op 0
		.amdhsa_exception_fp_denorm_src 0
		.amdhsa_exception_fp_ieee_div_zero 0
		.amdhsa_exception_fp_ieee_overflow 0
		.amdhsa_exception_fp_ieee_underflow 0
		.amdhsa_exception_fp_ieee_inexact 0
		.amdhsa_exception_int_div_zero 0
	.end_amdhsa_kernel
	.text
.Lfunc_end0:
	.size	fft_rtc_fwd_len546_factors_13_3_7_2_wgs_117_tpt_39_halfLds_dp_op_CI_CI_unitstride_sbrr_R2C_dirReg, .Lfunc_end0-fft_rtc_fwd_len546_factors_13_3_7_2_wgs_117_tpt_39_halfLds_dp_op_CI_CI_unitstride_sbrr_R2C_dirReg
                                        ; -- End function
	.section	.AMDGPU.csdata,"",@progbits
; Kernel info:
; codeLenInByte = 14520
; NumSgprs: 48
; NumVgprs: 256
; ScratchSize: 20
; MemoryBound: 0
; FloatMode: 240
; IeeeMode: 1
; LDSByteSize: 0 bytes/workgroup (compile time only)
; SGPRBlocks: 5
; VGPRBlocks: 31
; NumSGPRsForWavesPerEU: 48
; NumVGPRsForWavesPerEU: 256
; Occupancy: 5
; WaveLimiterHint : 1
; COMPUTE_PGM_RSRC2:SCRATCH_EN: 1
; COMPUTE_PGM_RSRC2:USER_SGPR: 2
; COMPUTE_PGM_RSRC2:TRAP_HANDLER: 0
; COMPUTE_PGM_RSRC2:TGID_X_EN: 1
; COMPUTE_PGM_RSRC2:TGID_Y_EN: 0
; COMPUTE_PGM_RSRC2:TGID_Z_EN: 0
; COMPUTE_PGM_RSRC2:TIDIG_COMP_CNT: 0
	.text
	.p2alignl 7, 3214868480
	.fill 96, 4, 3214868480
	.type	__hip_cuid_48908d8af7e4ccee,@object ; @__hip_cuid_48908d8af7e4ccee
	.section	.bss,"aw",@nobits
	.globl	__hip_cuid_48908d8af7e4ccee
__hip_cuid_48908d8af7e4ccee:
	.byte	0                               ; 0x0
	.size	__hip_cuid_48908d8af7e4ccee, 1

	.ident	"AMD clang version 19.0.0git (https://github.com/RadeonOpenCompute/llvm-project roc-6.4.0 25133 c7fe45cf4b819c5991fe208aaa96edf142730f1d)"
	.section	".note.GNU-stack","",@progbits
	.addrsig
	.addrsig_sym __hip_cuid_48908d8af7e4ccee
	.amdgpu_metadata
---
amdhsa.kernels:
  - .args:
      - .actual_access:  read_only
        .address_space:  global
        .offset:         0
        .size:           8
        .value_kind:     global_buffer
      - .offset:         8
        .size:           8
        .value_kind:     by_value
      - .actual_access:  read_only
        .address_space:  global
        .offset:         16
        .size:           8
        .value_kind:     global_buffer
      - .actual_access:  read_only
        .address_space:  global
        .offset:         24
        .size:           8
        .value_kind:     global_buffer
      - .actual_access:  read_only
        .address_space:  global
        .offset:         32
        .size:           8
        .value_kind:     global_buffer
      - .offset:         40
        .size:           8
        .value_kind:     by_value
      - .actual_access:  read_only
        .address_space:  global
        .offset:         48
        .size:           8
        .value_kind:     global_buffer
      - .actual_access:  read_only
        .address_space:  global
        .offset:         56
        .size:           8
        .value_kind:     global_buffer
      - .offset:         64
        .size:           4
        .value_kind:     by_value
      - .actual_access:  read_only
        .address_space:  global
        .offset:         72
        .size:           8
        .value_kind:     global_buffer
      - .actual_access:  read_only
        .address_space:  global
        .offset:         80
        .size:           8
        .value_kind:     global_buffer
      - .actual_access:  read_only
        .address_space:  global
        .offset:         88
        .size:           8
        .value_kind:     global_buffer
      - .actual_access:  write_only
        .address_space:  global
        .offset:         96
        .size:           8
        .value_kind:     global_buffer
    .group_segment_fixed_size: 0
    .kernarg_segment_align: 8
    .kernarg_segment_size: 104
    .language:       OpenCL C
    .language_version:
      - 2
      - 0
    .max_flat_workgroup_size: 117
    .name:           fft_rtc_fwd_len546_factors_13_3_7_2_wgs_117_tpt_39_halfLds_dp_op_CI_CI_unitstride_sbrr_R2C_dirReg
    .private_segment_fixed_size: 20
    .sgpr_count:     48
    .sgpr_spill_count: 0
    .symbol:         fft_rtc_fwd_len546_factors_13_3_7_2_wgs_117_tpt_39_halfLds_dp_op_CI_CI_unitstride_sbrr_R2C_dirReg.kd
    .uniform_work_group_size: 1
    .uses_dynamic_stack: false
    .vgpr_count:     256
    .vgpr_spill_count: 8
    .wavefront_size: 32
    .workgroup_processor_mode: 1
amdhsa.target:   amdgcn-amd-amdhsa--gfx1201
amdhsa.version:
  - 1
  - 2
...

	.end_amdgpu_metadata
